;; amdgpu-corpus repo=ROCm/rocFFT kind=compiled arch=gfx1030 opt=O3
	.text
	.amdgcn_target "amdgcn-amd-amdhsa--gfx1030"
	.amdhsa_code_object_version 6
	.protected	fft_rtc_back_len195_factors_13_5_3_wgs_52_tpt_13_half_op_CI_CI_sbrr_dirReg ; -- Begin function fft_rtc_back_len195_factors_13_5_3_wgs_52_tpt_13_half_op_CI_CI_sbrr_dirReg
	.globl	fft_rtc_back_len195_factors_13_5_3_wgs_52_tpt_13_half_op_CI_CI_sbrr_dirReg
	.p2align	8
	.type	fft_rtc_back_len195_factors_13_5_3_wgs_52_tpt_13_half_op_CI_CI_sbrr_dirReg,@function
fft_rtc_back_len195_factors_13_5_3_wgs_52_tpt_13_half_op_CI_CI_sbrr_dirReg: ; @fft_rtc_back_len195_factors_13_5_3_wgs_52_tpt_13_half_op_CI_CI_sbrr_dirReg
; %bb.0:
	s_clause 0x2
	s_load_dwordx4 s[16:19], s[4:5], 0x18
	s_load_dwordx4 s[12:15], s[4:5], 0x0
	;; [unrolled: 1-line block ×3, first 2 shown]
	v_mul_u32_u24_e32 v1, 0x13b2, v0
	v_mov_b32_e32 v3, 0
	s_waitcnt lgkmcnt(0)
	s_load_dwordx2 s[20:21], s[16:17], 0x0
	s_load_dwordx2 s[2:3], s[18:19], 0x0
	v_lshrrev_b32_e32 v7, 16, v1
	v_cmp_lt_u64_e64 s0, s[14:15], 2
	v_mov_b32_e32 v1, 0
	v_mov_b32_e32 v6, v3
	;; [unrolled: 1-line block ×3, first 2 shown]
	v_lshl_add_u32 v5, s6, 2, v7
	s_and_b32 vcc_lo, exec_lo, s0
	s_cbranch_vccnz .LBB0_8
; %bb.1:
	s_load_dwordx2 s[0:1], s[4:5], 0x10
	v_mov_b32_e32 v1, 0
	v_mov_b32_e32 v2, 0
	s_add_u32 s6, s18, 8
	s_addc_u32 s7, s19, 0
	s_add_u32 s22, s16, 8
	s_addc_u32 s23, s17, 0
	v_mov_b32_e32 v9, v2
	v_mov_b32_e32 v8, v1
	s_mov_b64 s[26:27], 1
	s_waitcnt lgkmcnt(0)
	s_add_u32 s24, s0, 8
	s_addc_u32 s25, s1, 0
.LBB0_2:                                ; =>This Inner Loop Header: Depth=1
	s_load_dwordx2 s[28:29], s[24:25], 0x0
                                        ; implicit-def: $vgpr10_vgpr11
	s_mov_b32 s0, exec_lo
	s_waitcnt lgkmcnt(0)
	v_or_b32_e32 v4, s29, v6
	v_cmpx_ne_u64_e32 0, v[3:4]
	s_xor_b32 s1, exec_lo, s0
	s_cbranch_execz .LBB0_4
; %bb.3:                                ;   in Loop: Header=BB0_2 Depth=1
	v_cvt_f32_u32_e32 v4, s28
	v_cvt_f32_u32_e32 v10, s29
	s_sub_u32 s0, 0, s28
	s_subb_u32 s30, 0, s29
	v_fmac_f32_e32 v4, 0x4f800000, v10
	v_rcp_f32_e32 v4, v4
	v_mul_f32_e32 v4, 0x5f7ffffc, v4
	v_mul_f32_e32 v10, 0x2f800000, v4
	v_trunc_f32_e32 v10, v10
	v_fmac_f32_e32 v4, 0xcf800000, v10
	v_cvt_u32_f32_e32 v10, v10
	v_cvt_u32_f32_e32 v4, v4
	v_mul_lo_u32 v11, s0, v10
	v_mul_hi_u32 v12, s0, v4
	v_mul_lo_u32 v13, s30, v4
	v_add_nc_u32_e32 v11, v12, v11
	v_mul_lo_u32 v12, s0, v4
	v_add_nc_u32_e32 v11, v11, v13
	v_mul_hi_u32 v13, v4, v12
	v_mul_lo_u32 v14, v4, v11
	v_mul_hi_u32 v15, v4, v11
	v_mul_hi_u32 v16, v10, v12
	v_mul_lo_u32 v12, v10, v12
	v_mul_hi_u32 v17, v10, v11
	v_mul_lo_u32 v11, v10, v11
	v_add_co_u32 v13, vcc_lo, v13, v14
	v_add_co_ci_u32_e32 v14, vcc_lo, 0, v15, vcc_lo
	v_add_co_u32 v12, vcc_lo, v13, v12
	v_add_co_ci_u32_e32 v12, vcc_lo, v14, v16, vcc_lo
	v_add_co_ci_u32_e32 v13, vcc_lo, 0, v17, vcc_lo
	v_add_co_u32 v11, vcc_lo, v12, v11
	v_add_co_ci_u32_e32 v12, vcc_lo, 0, v13, vcc_lo
	v_add_co_u32 v4, vcc_lo, v4, v11
	v_add_co_ci_u32_e32 v10, vcc_lo, v10, v12, vcc_lo
	v_mul_hi_u32 v11, s0, v4
	v_mul_lo_u32 v13, s30, v4
	v_mul_lo_u32 v12, s0, v10
	v_add_nc_u32_e32 v11, v11, v12
	v_mul_lo_u32 v12, s0, v4
	v_add_nc_u32_e32 v11, v11, v13
	v_mul_hi_u32 v13, v4, v12
	v_mul_lo_u32 v14, v4, v11
	v_mul_hi_u32 v15, v4, v11
	v_mul_hi_u32 v16, v10, v12
	v_mul_lo_u32 v12, v10, v12
	v_mul_hi_u32 v17, v10, v11
	v_mul_lo_u32 v11, v10, v11
	v_add_co_u32 v13, vcc_lo, v13, v14
	v_add_co_ci_u32_e32 v14, vcc_lo, 0, v15, vcc_lo
	v_add_co_u32 v12, vcc_lo, v13, v12
	v_add_co_ci_u32_e32 v12, vcc_lo, v14, v16, vcc_lo
	v_add_co_ci_u32_e32 v13, vcc_lo, 0, v17, vcc_lo
	v_add_co_u32 v11, vcc_lo, v12, v11
	v_add_co_ci_u32_e32 v12, vcc_lo, 0, v13, vcc_lo
	v_add_co_u32 v4, vcc_lo, v4, v11
	v_add_co_ci_u32_e32 v14, vcc_lo, v10, v12, vcc_lo
	v_mul_hi_u32 v16, v5, v4
	v_mad_u64_u32 v[12:13], null, v6, v4, 0
	v_mad_u64_u32 v[10:11], null, v5, v14, 0
	;; [unrolled: 1-line block ×3, first 2 shown]
	v_add_co_u32 v4, vcc_lo, v16, v10
	v_add_co_ci_u32_e32 v10, vcc_lo, 0, v11, vcc_lo
	v_add_co_u32 v4, vcc_lo, v4, v12
	v_add_co_ci_u32_e32 v4, vcc_lo, v10, v13, vcc_lo
	v_add_co_ci_u32_e32 v10, vcc_lo, 0, v15, vcc_lo
	v_add_co_u32 v4, vcc_lo, v4, v14
	v_add_co_ci_u32_e32 v12, vcc_lo, 0, v10, vcc_lo
	v_mul_lo_u32 v13, s29, v4
	v_mad_u64_u32 v[10:11], null, s28, v4, 0
	v_mul_lo_u32 v14, s28, v12
	v_sub_co_u32 v10, vcc_lo, v5, v10
	v_add3_u32 v11, v11, v14, v13
	v_sub_nc_u32_e32 v13, v6, v11
	v_subrev_co_ci_u32_e64 v13, s0, s29, v13, vcc_lo
	v_add_co_u32 v14, s0, v4, 2
	v_add_co_ci_u32_e64 v15, s0, 0, v12, s0
	v_sub_co_u32 v16, s0, v10, s28
	v_sub_co_ci_u32_e32 v11, vcc_lo, v6, v11, vcc_lo
	v_subrev_co_ci_u32_e64 v13, s0, 0, v13, s0
	v_cmp_le_u32_e32 vcc_lo, s28, v16
	v_cmp_eq_u32_e64 s0, s29, v11
	v_cndmask_b32_e64 v16, 0, -1, vcc_lo
	v_cmp_le_u32_e32 vcc_lo, s29, v13
	v_cndmask_b32_e64 v17, 0, -1, vcc_lo
	v_cmp_le_u32_e32 vcc_lo, s28, v10
	v_cndmask_b32_e64 v10, 0, -1, vcc_lo
	v_cmp_le_u32_e32 vcc_lo, s29, v11
	v_cndmask_b32_e64 v18, 0, -1, vcc_lo
	v_cmp_eq_u32_e32 vcc_lo, s29, v13
	v_cndmask_b32_e64 v10, v18, v10, s0
	v_cndmask_b32_e32 v13, v17, v16, vcc_lo
	v_add_co_u32 v16, vcc_lo, v4, 1
	v_add_co_ci_u32_e32 v17, vcc_lo, 0, v12, vcc_lo
	v_cmp_ne_u32_e32 vcc_lo, 0, v13
	v_cndmask_b32_e32 v11, v17, v15, vcc_lo
	v_cndmask_b32_e32 v13, v16, v14, vcc_lo
	v_cmp_ne_u32_e32 vcc_lo, 0, v10
	v_cndmask_b32_e32 v11, v12, v11, vcc_lo
	v_cndmask_b32_e32 v10, v4, v13, vcc_lo
.LBB0_4:                                ;   in Loop: Header=BB0_2 Depth=1
	s_andn2_saveexec_b32 s0, s1
	s_cbranch_execz .LBB0_6
; %bb.5:                                ;   in Loop: Header=BB0_2 Depth=1
	v_cvt_f32_u32_e32 v4, s28
	s_sub_i32 s1, 0, s28
	v_rcp_iflag_f32_e32 v4, v4
	v_mul_f32_e32 v4, 0x4f7ffffe, v4
	v_cvt_u32_f32_e32 v4, v4
	v_mul_lo_u32 v10, s1, v4
	v_mul_hi_u32 v10, v4, v10
	v_add_nc_u32_e32 v4, v4, v10
	v_mul_hi_u32 v4, v5, v4
	v_mul_lo_u32 v10, v4, s28
	v_add_nc_u32_e32 v11, 1, v4
	v_sub_nc_u32_e32 v10, v5, v10
	v_subrev_nc_u32_e32 v12, s28, v10
	v_cmp_le_u32_e32 vcc_lo, s28, v10
	v_cndmask_b32_e32 v10, v10, v12, vcc_lo
	v_cndmask_b32_e32 v4, v4, v11, vcc_lo
	v_cmp_le_u32_e32 vcc_lo, s28, v10
	v_add_nc_u32_e32 v11, 1, v4
	v_cndmask_b32_e32 v10, v4, v11, vcc_lo
	v_mov_b32_e32 v11, v3
.LBB0_6:                                ;   in Loop: Header=BB0_2 Depth=1
	s_or_b32 exec_lo, exec_lo, s0
	v_mul_lo_u32 v4, v11, s28
	v_mul_lo_u32 v14, v10, s29
	s_load_dwordx2 s[0:1], s[22:23], 0x0
	v_mad_u64_u32 v[12:13], null, v10, s28, 0
	s_load_dwordx2 s[28:29], s[6:7], 0x0
	s_add_u32 s26, s26, 1
	s_addc_u32 s27, s27, 0
	s_add_u32 s6, s6, 8
	s_addc_u32 s7, s7, 0
	s_add_u32 s22, s22, 8
	v_add3_u32 v4, v13, v14, v4
	v_sub_co_u32 v5, vcc_lo, v5, v12
	s_addc_u32 s23, s23, 0
	s_add_u32 s24, s24, 8
	v_sub_co_ci_u32_e32 v4, vcc_lo, v6, v4, vcc_lo
	s_addc_u32 s25, s25, 0
	s_waitcnt lgkmcnt(0)
	v_mul_lo_u32 v6, s0, v4
	v_mul_lo_u32 v12, s1, v5
	v_mad_u64_u32 v[1:2], null, s0, v5, v[1:2]
	v_mul_lo_u32 v4, s28, v4
	v_mul_lo_u32 v13, s29, v5
	v_mad_u64_u32 v[8:9], null, s28, v5, v[8:9]
	v_cmp_ge_u64_e64 s0, s[26:27], s[14:15]
	v_add3_u32 v2, v12, v2, v6
	v_add3_u32 v9, v13, v9, v4
	s_and_b32 vcc_lo, exec_lo, s0
	s_cbranch_vccnz .LBB0_9
; %bb.7:                                ;   in Loop: Header=BB0_2 Depth=1
	v_mov_b32_e32 v5, v10
	v_mov_b32_e32 v6, v11
	s_branch .LBB0_2
.LBB0_8:
	v_mov_b32_e32 v9, v2
	v_mov_b32_e32 v11, v6
	;; [unrolled: 1-line block ×4, first 2 shown]
.LBB0_9:
	s_load_dwordx2 s[0:1], s[4:5], 0x28
	v_mul_hi_u32 v3, 0x13b13b14, v0
	s_lshl_b64 s[6:7], s[14:15], 3
	v_and_b32_e32 v4, 3, v7
	s_add_u32 s4, s18, s6
	s_addc_u32 s5, s19, s7
                                        ; implicit-def: $vgpr29
                                        ; implicit-def: $vgpr33
	s_waitcnt lgkmcnt(0)
	v_cmp_gt_u64_e32 vcc_lo, s[0:1], v[10:11]
	v_cmp_le_u64_e64 s0, s[0:1], v[10:11]
	s_and_saveexec_b32 s1, s0
	s_xor_b32 s0, exec_lo, s1
; %bb.10:
	v_mul_u32_u24_e32 v1, 13, v3
                                        ; implicit-def: $vgpr3
	v_sub_nc_u32_e32 v29, v0, v1
                                        ; implicit-def: $vgpr0
                                        ; implicit-def: $vgpr1_vgpr2
	v_add_nc_u32_e32 v33, 13, v29
; %bb.11:
	s_or_saveexec_b32 s1, s0
	v_mul_u32_u24_e32 v4, 0xc3, v4
	v_lshlrev_b32_e32 v32, 2, v4
	s_xor_b32 exec_lo, exec_lo, s1
	s_cbranch_execz .LBB0_13
; %bb.12:
	s_add_u32 s6, s16, s6
	s_addc_u32 s7, s17, s7
	v_mul_u32_u24_e32 v3, 13, v3
	s_load_dwordx2 s[6:7], s[6:7], 0x0
	v_sub_nc_u32_e32 v29, v0, v3
	v_lshlrev_b64 v[0:1], 2, v[1:2]
	v_mad_u64_u32 v[3:4], null, s20, v29, 0
	v_add_nc_u32_e32 v33, 13, v29
	v_add_nc_u32_e32 v7, 26, v29
	;; [unrolled: 1-line block ×5, first 2 shown]
	v_mad_u64_u32 v[5:6], null, s20, v33, 0
	v_mov_b32_e32 v2, v4
	v_mad_u64_u32 v[12:13], null, s20, v7, 0
	s_waitcnt lgkmcnt(0)
	v_mul_lo_u32 v4, s7, v10
	v_mul_lo_u32 v19, s6, v11
	v_mad_u64_u32 v[14:15], null, s6, v10, 0
	v_mad_u64_u32 v[16:17], null, s21, v29, v[2:3]
	v_mov_b32_e32 v2, v6
	v_mov_b32_e32 v6, v13
	v_mad_u64_u32 v[17:18], null, s20, v22, 0
	v_add3_u32 v15, v15, v19, v4
	v_mad_u64_u32 v[19:20], null, s21, v33, v[2:3]
	v_mov_b32_e32 v4, v16
	v_mad_u64_u32 v[20:21], null, s20, v23, 0
	v_lshlrev_b64 v[13:14], 2, v[14:15]
	v_mad_u64_u32 v[15:16], null, s21, v7, v[6:7]
	v_lshlrev_b64 v[3:4], 2, v[3:4]
	v_mov_b32_e32 v6, v19
	v_mov_b32_e32 v2, v18
	v_add_co_u32 v7, s0, s8, v13
	v_add_co_ci_u32_e64 v14, s0, s9, v14, s0
	v_mov_b32_e32 v13, v15
	v_add_co_u32 v30, s0, v7, v0
	v_add_co_ci_u32_e64 v31, s0, v14, v1, s0
	v_lshlrev_b64 v[0:1], 2, v[5:6]
	v_add_co_u32 v3, s0, v30, v3
	v_add_co_ci_u32_e64 v4, s0, v31, v4, s0
	v_add_nc_u32_e32 v19, 0x41, v29
	v_mad_u64_u32 v[5:6], null, s21, v22, v[2:3]
	v_lshlrev_b64 v[6:7], 2, v[12:13]
	v_add_co_u32 v0, s0, v30, v0
	v_mov_b32_e32 v2, v21
	v_add_co_ci_u32_e64 v1, s0, v31, v1, s0
	v_mov_b32_e32 v18, v5
	v_add_co_u32 v5, s0, v30, v6
	v_mad_u64_u32 v[12:13], null, s20, v19, 0
	v_mad_u64_u32 v[14:15], null, s21, v23, v[2:3]
	v_add_co_ci_u32_e64 v6, s0, v31, v7, s0
	v_add_nc_u32_e32 v7, 0x4e, v29
	v_lshlrev_b64 v[15:16], 2, v[17:18]
	v_mov_b32_e32 v2, v13
	v_add_nc_u32_e32 v34, 0x75, v29
	v_mov_b32_e32 v21, v14
	v_mad_u64_u32 v[17:18], null, s20, v7, 0
	v_mad_u64_u32 v[13:14], null, s21, v19, v[2:3]
	v_lshlrev_b64 v[19:20], 2, v[20:21]
	v_mad_u64_u32 v[21:22], null, s20, v25, 0
	v_add_co_u32 v14, s0, v30, v15
	v_mov_b32_e32 v2, v18
	v_lshlrev_b64 v[12:13], 2, v[12:13]
	v_add_co_ci_u32_e64 v15, s0, v31, v16, s0
	v_add_co_u32 v19, s0, v30, v19
	v_mad_u64_u32 v[23:24], null, s21, v7, v[2:3]
	v_mov_b32_e32 v2, v22
	v_add_nc_u32_e32 v7, 0x68, v29
	v_add_co_ci_u32_e64 v20, s0, v31, v20, s0
	v_add_co_u32 v12, s0, v30, v12
	v_mov_b32_e32 v18, v23
	v_mad_u64_u32 v[22:23], null, s21, v25, v[2:3]
	v_mad_u64_u32 v[23:24], null, s20, v7, 0
	;; [unrolled: 1-line block ×3, first 2 shown]
	v_lshlrev_b64 v[16:17], 2, v[17:18]
	v_add_co_ci_u32_e64 v13, s0, v31, v13, s0
	v_lshlrev_b64 v[21:22], 2, v[21:22]
	v_mov_b32_e32 v2, v24
	v_add_co_u32 v16, s0, v30, v16
	v_add_co_ci_u32_e64 v17, s0, v31, v17, s0
	v_mad_u64_u32 v[27:28], null, s21, v7, v[2:3]
	v_mov_b32_e32 v2, v26
	v_add_nc_u32_e32 v7, 0x82, v29
	v_add_co_u32 v21, s0, v30, v21
	v_add_co_ci_u32_e64 v22, s0, v31, v22, s0
	v_mov_b32_e32 v24, v27
	v_mad_u64_u32 v[26:27], null, s21, v34, v[2:3]
	v_mad_u64_u32 v[27:28], null, s20, v7, 0
	s_clause 0x7
	global_load_dword v34, v[3:4], off
	global_load_dword v35, v[0:1], off
	;; [unrolled: 1-line block ×8, first 2 shown]
	v_add_nc_u32_e32 v14, 0x8f, v29
	v_add_nc_u32_e32 v16, 0x9c, v29
	;; [unrolled: 1-line block ×3, first 2 shown]
	v_lshlrev_b64 v[0:1], 2, v[23:24]
	v_lshlrev_b64 v[12:13], 2, v[25:26]
	v_mad_u64_u32 v[3:4], null, s20, v14, 0
	v_mov_b32_e32 v2, v28
	v_add_co_u32 v0, s0, v30, v0
	v_add_co_ci_u32_e64 v1, s0, v31, v1, s0
	v_mad_u64_u32 v[5:6], null, s21, v7, v[2:3]
	v_mad_u64_u32 v[6:7], null, s20, v16, 0
	v_mov_b32_e32 v2, v4
	v_add_co_u32 v12, s0, v30, v12
	v_add_co_ci_u32_e64 v13, s0, v31, v13, s0
	v_mov_b32_e32 v28, v5
	v_mad_u64_u32 v[4:5], null, s21, v14, v[2:3]
	v_mov_b32_e32 v2, v7
	v_mad_u64_u32 v[14:15], null, s20, v21, 0
	v_add_nc_u32_e32 v5, 0xb6, v29
	v_lshlrev_b64 v[19:20], 2, v[27:28]
	v_mad_u64_u32 v[16:17], null, s21, v16, v[2:3]
	v_mad_u64_u32 v[17:18], null, s20, v5, 0
	v_mov_b32_e32 v2, v15
	v_add_co_u32 v19, s0, v30, v19
	v_mov_b32_e32 v7, v16
	v_add_co_ci_u32_e64 v20, s0, v31, v20, s0
	v_mad_u64_u32 v[15:16], null, s21, v21, v[2:3]
	v_lshlrev_b64 v[3:4], 2, v[3:4]
	v_mov_b32_e32 v2, v18
	v_mad_u64_u32 v[21:22], null, s21, v5, v[2:3]
	v_lshlrev_b64 v[5:6], 2, v[6:7]
	v_add_co_u32 v2, s0, v30, v3
	v_add_co_ci_u32_e64 v3, s0, v31, v4, s0
	v_lshlrev_b64 v[14:15], 2, v[14:15]
	v_mov_b32_e32 v18, v21
	v_add_co_u32 v4, s0, v30, v5
	v_add_co_ci_u32_e64 v5, s0, v31, v6, s0
	v_lshlrev_b64 v[6:7], 2, v[17:18]
	v_add_co_u32 v14, s0, v30, v14
	v_add_co_ci_u32_e64 v15, s0, v31, v15, s0
	v_add_co_u32 v6, s0, v30, v6
	v_add_co_ci_u32_e64 v7, s0, v31, v7, s0
	s_clause 0x6
	global_load_dword v0, v[0:1], off
	global_load_dword v1, v[12:13], off
	;; [unrolled: 1-line block ×7, first 2 shown]
	v_lshlrev_b32_e32 v6, 2, v29
	v_add3_u32 v6, 0, v32, v6
	s_waitcnt vmcnt(13)
	ds_write2_b32 v6, v34, v35 offset1:13
	s_waitcnt vmcnt(11)
	ds_write2_b32 v6, v36, v37 offset0:26 offset1:39
	s_waitcnt vmcnt(9)
	ds_write2_b32 v6, v38, v39 offset0:52 offset1:65
	;; [unrolled: 2-line block ×6, first 2 shown]
	s_waitcnt vmcnt(0)
	ds_write_b32 v6, v5 offset:728
.LBB0_13:
	s_or_b32 exec_lo, exec_lo, s1
	v_lshlrev_b32_e32 v12, 2, v29
	v_add_nc_u32_e32 v30, 0, v32
	s_load_dwordx2 s[4:5], s[4:5], 0x0
	s_waitcnt lgkmcnt(0)
	s_barrier
	v_add_nc_u32_e32 v0, 0, v12
	v_add_nc_u32_e32 v34, v30, v12
	buffer_gl0_inv
	v_mov_b32_e32 v36, 0xba95
	v_mov_b32_e32 v35, 0xbb7b
	v_add_nc_u32_e32 v31, v0, v32
	v_mov_b32_e32 v38, 0x388b
	v_mov_b32_e32 v37, 0xb5ac
	;; [unrolled: 1-line block ×3, first 2 shown]
	v_mad_u32_u24 v41, v29, 52, v30
	ds_read2_b32 v[0:1], v31 offset0:13 offset1:15
	ds_read_b32 v42, v34
	ds_read2_b32 v[2:3], v31 offset0:178 offset1:180
	ds_read2_b32 v[27:28], v31 offset0:28 offset1:30
	;; [unrolled: 1-line block ×11, first 2 shown]
	ds_read_b32 v40, v31 offset:772
	s_waitcnt lgkmcnt(0)
	s_barrier
	buffer_gl0_inv
	s_mov_b32 s1, exec_lo
	v_pk_add_f16 v43, v42, v1
	v_pk_add_f16 v62, v3, v1
	v_pk_add_f16 v63, v1, v3 neg_lo:[0,1] neg_hi:[0,1]
	v_pk_add_f16 v64, v5, v28
	v_pk_add_f16 v65, v28, v5 neg_lo:[0,1] neg_hi:[0,1]
	v_pk_add_f16 v1, v43, v28
	v_pk_add_f16 v66, v7, v26
	v_pk_mul_f16 v28, 0xb770, v63 op_sel_hi:[0,1]
	v_pk_add_f16 v67, v26, v7 neg_lo:[0,1] neg_hi:[0,1]
	v_pk_add_f16 v46, v22, v14 neg_lo:[0,1] neg_hi:[0,1]
	v_pk_add_f16 v1, v1, v26
	v_pk_mul_f16 v26, 0xba95, v65 op_sel_hi:[0,1]
	v_pk_fma_f16 v58, 0x3b15, v62, v28 op_sel:[0,0,1] op_sel_hi:[0,1,0]
	v_pk_fma_f16 v59, 0x3b15, v62, v28 op_sel:[0,0,1] op_sel_hi:[0,1,0] neg_lo:[0,0,1] neg_hi:[0,0,1]
	v_pk_add_f16 v51, v16, v24
	v_pk_add_f16 v1, v1, v22
	v_pk_add_f16 v45, v24, v16 neg_lo:[0,1] neg_hi:[0,1]
	v_pk_mul_f16 v47, 0xbbf1, v67 op_sel_hi:[0,1]
	v_pk_fma_f16 v53, 0x388b, v64, v26 op_sel:[0,0,1] op_sel_hi:[0,1,0]
	v_pk_fma_f16 v55, 0x388b, v64, v26 op_sel:[0,0,1] op_sel_hi:[0,1,0] neg_lo:[0,0,1] neg_hi:[0,0,1]
	v_pk_add_f16 v1, v1, v24
	v_bfi_b32 v24, 0xffff, v58, v59
	v_pk_add_f16 v68, v14, v22
	v_pk_add_f16 v44, v18, v20
	v_pk_add_f16 v43, v20, v18 neg_lo:[0,1] neg_hi:[0,1]
	v_pk_add_f16 v1, v1, v20
	v_pk_mul_f16 v49, 0xbb7b, v46 op_sel_hi:[0,1]
	v_pk_fma_f16 v48, 0x2fb7, v66, v47 op_sel:[0,0,1] op_sel_hi:[0,1,0]
	v_pk_fma_f16 v54, 0x2fb7, v66, v47 op_sel:[0,0,1] op_sel_hi:[0,1,0] neg_lo:[0,0,1] neg_hi:[0,0,1]
	v_bfi_b32 v20, 0xffff, v53, v55
	v_pk_add_f16 v24, v42, v24
	v_pk_add_f16 v1, v1, v18
	v_pk_mul_f16 v52, 0xb94e, v45 op_sel_hi:[0,1]
	v_mul_f16_sdwa v69, v63, v36 dst_sel:DWORD dst_unused:UNUSED_PAD src0_sel:WORD_1 src1_sel:DWORD
	v_pk_fma_f16 v47, 0xb5ac, v68, v49 op_sel:[0,0,1] op_sel_hi:[0,1,0]
	v_pk_fma_f16 v50, 0xb5ac, v68, v49 op_sel:[0,0,1] op_sel_hi:[0,1,0] neg_lo:[0,0,1] neg_hi:[0,0,1]
	v_bfi_b32 v18, 0xffff, v48, v54
	v_pk_add_f16 v20, v20, v24
	v_pk_add_f16 v1, v1, v16
	v_pk_fma_f16 v49, 0xb9fd, v51, v52 op_sel:[0,0,1] op_sel_hi:[0,1,0]
	v_pk_fma_f16 v56, 0xb9fd, v51, v52 op_sel:[0,0,1] op_sel_hi:[0,1,0] neg_lo:[0,0,1] neg_hi:[0,0,1]
	v_bfi_b32 v16, 0xffff, v47, v50
	v_pk_add_f16 v18, v18, v20
	v_pk_add_f16 v1, v1, v14
	v_mul_f16_sdwa v70, v65, v35 dst_sel:DWORD dst_unused:UNUSED_PAD src0_sel:WORD_1 src1_sel:DWORD
	v_fmamk_f16 v20, v62, 0x388b, v69
	v_bfi_b32 v14, 0xffff, v49, v56
	v_pk_add_f16 v16, v16, v18
	v_pk_add_f16 v60, v1, v7
	v_mul_f16_sdwa v71, v62, v38 dst_sel:DWORD dst_unused:UNUSED_PAD src0_sel:WORD_1 src1_sel:DWORD
	v_fmamk_f16 v1, v64, 0xb5ac, v70
	v_add_f16_e32 v7, v42, v20
	v_pk_mul_f16 v22, 0xb3a8, v43 op_sel_hi:[0,1]
	v_pk_add_f16 v72, v14, v16
	v_mul_f16_sdwa v73, v63, v39 dst_sel:DWORD dst_unused:UNUSED_PAD src0_sel:WORD_1 src1_sel:DWORD
	v_fmamk_f16 v16, v63, 0x3a95, v71
	v_add_f16_e32 v7, v1, v7
	v_mov_b32_e32 v1, 0xb3a8
	v_mul_f16_sdwa v74, v64, v37 dst_sel:DWORD dst_unused:UNUSED_PAD src0_sel:WORD_1 src1_sel:DWORD
	v_mov_b32_e32 v14, 0x2fb7
	v_pk_fma_f16 v52, 0xbbc4, v44, v22 op_sel:[0,0,1] op_sel_hi:[0,1,0]
	v_pk_fma_f16 v57, 0xbbc4, v44, v22 op_sel:[0,0,1] op_sel_hi:[0,1,0] neg_lo:[0,0,1] neg_hi:[0,0,1]
	v_add_f16_sdwa v16, v42, v16 dst_sel:DWORD dst_unused:UNUSED_PAD src0_sel:WORD_1 src1_sel:DWORD
	v_fmamk_f16 v18, v62, 0x2fb7, v73
	v_mul_f16_sdwa v75, v65, v1 dst_sel:DWORD dst_unused:UNUSED_PAD src0_sel:WORD_1 src1_sel:DWORD
	v_fmamk_f16 v22, v65, 0x3b7b, v74
	v_mul_f16_sdwa v76, v62, v14 dst_sel:DWORD dst_unused:UNUSED_PAD src0_sel:WORD_1 src1_sel:DWORD
	v_mov_b32_e32 v20, 0xbbc4
	v_add_f16_e32 v18, v42, v18
	v_fmamk_f16 v24, v64, 0xbbc4, v75
	v_add_f16_e32 v22, v22, v16
	v_fmamk_f16 v16, v63, 0x3bf1, v76
	v_mul_f16_sdwa v77, v64, v20 dst_sel:DWORD dst_unused:UNUSED_PAD src0_sel:WORD_1 src1_sel:DWORD
	v_mul_f16_sdwa v78, v67, v1 dst_sel:DWORD dst_unused:UNUSED_PAD src0_sel:WORD_1 src1_sel:DWORD
	v_mov_b32_e32 v26, 0x3b7b
	v_add_f16_e32 v18, v24, v18
	v_add_f16_sdwa v16, v42, v16 dst_sel:DWORD dst_unused:UNUSED_PAD src0_sel:WORD_1 src1_sel:DWORD
	v_fmamk_f16 v24, v65, 0x33a8, v77
	v_fmamk_f16 v28, v66, 0xbbc4, v78
	v_mul_f16_sdwa v79, v66, v20 dst_sel:DWORD dst_unused:UNUSED_PAD src0_sel:WORD_1 src1_sel:DWORD
	v_mul_f16_sdwa v80, v67, v26 dst_sel:DWORD dst_unused:UNUSED_PAD src0_sel:WORD_1 src1_sel:DWORD
	;; [unrolled: 1-line block ×3, first 2 shown]
	v_add_f16_e32 v82, v24, v16
	v_add_f16_e32 v28, v28, v7
	v_fmamk_f16 v7, v67, 0x33a8, v79
	v_fmamk_f16 v83, v66, 0xb5ac, v80
	;; [unrolled: 1-line block ×3, first 2 shown]
	v_mov_b32_e32 v16, 0x394e
	v_mov_b32_e32 v24, 0xb9fd
	v_add_f16_e32 v85, v7, v22
	v_add_f16_e32 v83, v83, v18
	;; [unrolled: 1-line block ×3, first 2 shown]
	v_mul_f16_sdwa v84, v46, v16 dst_sel:DWORD dst_unused:UNUSED_PAD src0_sel:WORD_1 src1_sel:DWORD
	v_mul_f16_sdwa v86, v68, v24 dst_sel:DWORD dst_unused:UNUSED_PAD src0_sel:WORD_1 src1_sel:DWORD
	v_mov_b32_e32 v7, 0x3770
	v_mov_b32_e32 v22, 0x3b15
	;; [unrolled: 1-line block ×3, first 2 shown]
	v_fmamk_f16 v87, v68, 0xb9fd, v84
	v_fmamk_f16 v88, v46, 0xb94e, v86
	v_mul_f16_sdwa v89, v46, v7 dst_sel:DWORD dst_unused:UNUSED_PAD src0_sel:WORD_1 src1_sel:DWORD
	v_mul_f16_sdwa v90, v68, v22 dst_sel:DWORD dst_unused:UNUSED_PAD src0_sel:WORD_1 src1_sel:DWORD
	;; [unrolled: 1-line block ×3, first 2 shown]
	v_add_f16_e32 v28, v87, v28
	v_add_f16_e32 v85, v88, v85
	v_fmamk_f16 v87, v68, 0x3b15, v89
	v_fmamk_f16 v88, v46, 0xb770, v90
	;; [unrolled: 1-line block ×3, first 2 shown]
	v_mul_f16_sdwa v93, v51, v14 dst_sel:DWORD dst_unused:UNUSED_PAD src0_sel:WORD_1 src1_sel:DWORD
	v_mul_f16_sdwa v94, v45, v36 dst_sel:DWORD dst_unused:UNUSED_PAD src0_sel:WORD_1 src1_sel:DWORD
	v_add_f16_e32 v83, v87, v83
	v_add_f16_e32 v82, v88, v82
	;; [unrolled: 1-line block ×3, first 2 shown]
	v_fmamk_f16 v88, v45, 0xbbf1, v93
	v_fmamk_f16 v92, v51, 0x388b, v94
	v_mul_f16_sdwa v95, v51, v38 dst_sel:DWORD dst_unused:UNUSED_PAD src0_sel:WORD_1 src1_sel:DWORD
	v_mov_b32_e32 v28, 0xb94e
	v_mul_f16_sdwa v97, v44, v24 dst_sel:DWORD dst_unused:UNUSED_PAD src0_sel:WORD_1 src1_sel:DWORD
	v_add_f16_e32 v85, v88, v85
	v_add_f16_e32 v83, v92, v83
	v_fmamk_f16 v88, v45, 0x3a95, v95
	v_mul_f16_sdwa v92, v43, v28 dst_sel:DWORD dst_unused:UNUSED_PAD src0_sel:WORD_1 src1_sel:DWORD
	v_mul_f16_sdwa v96, v43, v7 dst_sel:DWORD dst_unused:UNUSED_PAD src0_sel:WORD_1 src1_sel:DWORD
	;; [unrolled: 1-line block ×3, first 2 shown]
	v_fmamk_f16 v100, v43, 0x394e, v97
	v_add_f16_e32 v82, v88, v82
	v_fmamk_f16 v88, v44, 0xb9fd, v92
	v_fmamk_f16 v99, v44, 0x3b15, v96
	;; [unrolled: 1-line block ×3, first 2 shown]
	v_bfi_b32 v61, 0xffff, v52, v57
	v_pk_add_f16 v5, v60, v5
	v_add_f16_e32 v83, v88, v83
	v_add_f16_e32 v82, v100, v82
	;; [unrolled: 1-line block ×4, first 2 shown]
	v_pk_add_f16 v61, v61, v72
	v_pk_add_f16 v3, v5, v3
	v_pack_b32_f16 v5, v83, v82
	v_mul_f16_sdwa v72, v63, v35 dst_sel:DWORD dst_unused:UNUSED_PAD src0_sel:WORD_1 src1_sel:DWORD
	v_mul_f16_sdwa v82, v62, v37 dst_sel:DWORD dst_unused:UNUSED_PAD src0_sel:WORD_1 src1_sel:DWORD
	v_pack_b32_f16 v60, v60, v85
	ds_write2_b32 v41, v3, v61 offset1:1
	ds_write2_b32 v41, v60, v5 offset0:2 offset1:3
	v_fmamk_f16 v3, v62, 0xb5ac, v72
	v_mul_f16_sdwa v5, v65, v16 dst_sel:DWORD dst_unused:UNUSED_PAD src0_sel:WORD_1 src1_sel:DWORD
	v_fmamk_f16 v60, v63, 0x3b7b, v82
	v_mul_f16_sdwa v83, v64, v24 dst_sel:DWORD dst_unused:UNUSED_PAD src0_sel:WORD_1 src1_sel:DWORD
	v_mul_f16_sdwa v85, v63, v28 dst_sel:DWORD dst_unused:UNUSED_PAD src0_sel:WORD_1 src1_sel:DWORD
	v_add_f16_e32 v3, v42, v3
	v_fmamk_f16 v61, v64, 0xb9fd, v5
	v_add_f16_sdwa v60, v42, v60 dst_sel:DWORD dst_unused:UNUSED_PAD src0_sel:WORD_1 src1_sel:DWORD
	v_fmamk_f16 v87, v65, 0xb94e, v83
	v_fmamk_f16 v88, v62, 0xb9fd, v85
	v_mul_f16_sdwa v99, v65, v18 dst_sel:DWORD dst_unused:UNUSED_PAD src0_sel:WORD_1 src1_sel:DWORD
	v_mul_f16_sdwa v100, v62, v24 dst_sel:DWORD dst_unused:UNUSED_PAD src0_sel:WORD_1 src1_sel:DWORD
	v_add_f16_e32 v3, v61, v3
	v_add_f16_e32 v60, v87, v60
	;; [unrolled: 1-line block ×3, first 2 shown]
	v_fmamk_f16 v87, v64, 0x2fb7, v99
	v_fmamk_f16 v88, v63, 0x394e, v100
	v_mul_f16_sdwa v101, v64, v14 dst_sel:DWORD dst_unused:UNUSED_PAD src0_sel:WORD_1 src1_sel:DWORD
	v_mul_f16_sdwa v102, v67, v7 dst_sel:DWORD dst_unused:UNUSED_PAD src0_sel:WORD_1 src1_sel:DWORD
	;; [unrolled: 1-line block ×3, first 2 shown]
	v_add_f16_e32 v61, v87, v61
	v_add_f16_sdwa v87, v42, v88 dst_sel:DWORD dst_unused:UNUSED_PAD src0_sel:WORD_1 src1_sel:DWORD
	v_fmamk_f16 v88, v65, 0xbbf1, v101
	v_fmamk_f16 v104, v66, 0x3b15, v102
	;; [unrolled: 1-line block ×3, first 2 shown]
	v_mul_f16_sdwa v106, v67, v36 dst_sel:DWORD dst_unused:UNUSED_PAD src0_sel:WORD_1 src1_sel:DWORD
	v_mul_f16_sdwa v107, v66, v38 dst_sel:DWORD dst_unused:UNUSED_PAD src0_sel:WORD_1 src1_sel:DWORD
	v_add_f16_e32 v87, v88, v87
	v_add_f16_e32 v3, v104, v3
	;; [unrolled: 1-line block ×3, first 2 shown]
	v_fmamk_f16 v104, v66, 0x388b, v106
	v_fmamk_f16 v105, v67, 0x3a95, v107
	v_mul_f16_sdwa v108, v46, v39 dst_sel:DWORD dst_unused:UNUSED_PAD src0_sel:WORD_1 src1_sel:DWORD
	v_mul_f16_sdwa v109, v68, v14 dst_sel:DWORD dst_unused:UNUSED_PAD src0_sel:WORD_1 src1_sel:DWORD
	v_mov_b32_e32 v60, 0x33a8
	v_add_f16_e32 v61, v104, v61
	v_add_f16_e32 v87, v105, v87
	v_fmamk_f16 v104, v68, 0x2fb7, v108
	v_fmamk_f16 v105, v46, 0x3bf1, v109
	v_mul_f16_sdwa v110, v46, v60 dst_sel:DWORD dst_unused:UNUSED_PAD src0_sel:WORD_1 src1_sel:DWORD
	v_mul_f16_sdwa v111, v68, v20 dst_sel:DWORD dst_unused:UNUSED_PAD src0_sel:WORD_1 src1_sel:DWORD
	;; [unrolled: 1-line block ×3, first 2 shown]
	v_add_f16_e32 v3, v104, v3
	v_add_f16_e32 v88, v105, v88
	v_fmamk_f16 v104, v68, 0xbbc4, v110
	v_fmamk_f16 v105, v46, 0xb3a8, v111
	;; [unrolled: 1-line block ×3, first 2 shown]
	v_mul_f16_sdwa v114, v51, v20 dst_sel:DWORD dst_unused:UNUSED_PAD src0_sel:WORD_1 src1_sel:DWORD
	v_mul_f16_sdwa v115, v45, v7 dst_sel:DWORD dst_unused:UNUSED_PAD src0_sel:WORD_1 src1_sel:DWORD
	v_add_f16_e32 v61, v104, v61
	v_add_f16_e32 v87, v105, v87
	;; [unrolled: 1-line block ×3, first 2 shown]
	v_fmamk_f16 v104, v45, 0xb3a8, v114
	v_fmamk_f16 v105, v51, 0x3b15, v115
	v_mul_f16_sdwa v113, v51, v22 dst_sel:DWORD dst_unused:UNUSED_PAD src0_sel:WORD_1 src1_sel:DWORD
	v_fmac_f16_e32 v71, 0xba95, v63
	v_fmac_f16_e32 v74, 0xbb7b, v65
	v_add_f16_e32 v88, v104, v88
	v_add_f16_e32 v104, v105, v61
	v_fmamk_f16 v105, v45, 0xb770, v113
	v_mov_b32_e32 v61, 0x3a95
	v_fmac_f16_e32 v76, 0xbbf1, v63
	v_fmac_f16_e32 v77, 0xb3a8, v65
	v_fmac_f16_e32 v100, 0xb94e, v63
	v_add_f16_e32 v87, v105, v87
	v_mul_f16_sdwa v105, v43, v61 dst_sel:DWORD dst_unused:UNUSED_PAD src0_sel:WORD_1 src1_sel:DWORD
	v_fmac_f16_e32 v101, 0x3bf1, v65
	v_fma_f16 v5, v64, 0xb9fd, -v5
	v_fmac_f16_e32 v82, 0xbb7b, v63
	v_fmac_f16_e32 v83, 0x394e, v65
	v_fmamk_f16 v116, v44, 0x388b, v105
	v_fmac_f16_e32 v86, 0x394e, v46
	v_fmac_f16_e32 v90, 0x3770, v46
	;; [unrolled: 1-line block ×4, first 2 shown]
	v_add_f16_e32 v3, v116, v3
	v_mul_f16_sdwa v116, v43, v35 dst_sel:DWORD dst_unused:UNUSED_PAD src0_sel:WORD_1 src1_sel:DWORD
	v_bfi_b32 v58, 0xffff, v59, v58
	v_fmac_f16_e32 v103, 0x3770, v67
	v_fmac_f16_e32 v107, 0xba95, v67
	;; [unrolled: 1-line block ×3, first 2 shown]
	v_fmamk_f16 v117, v44, 0xb5ac, v116
	v_fmac_f16_e32 v81, 0x3b7b, v67
	v_fmac_f16_e32 v93, 0x3bf1, v45
	;; [unrolled: 1-line block ×4, first 2 shown]
	v_add_f16_e32 v104, v117, v104
	v_mul_f16_sdwa v117, v44, v37 dst_sel:DWORD dst_unused:UNUSED_PAD src0_sel:WORD_1 src1_sel:DWORD
	v_fmac_f16_e32 v113, 0x3770, v45
	v_bfi_b32 v53, 0xffff, v55, v53
	v_bfi_b32 v48, 0xffff, v54, v48
	v_bfi_b32 v47, 0xffff, v50, v47
	v_fmamk_f16 v118, v43, 0x3b7b, v117
	v_fmac_f16_e32 v117, 0xbb7b, v43
	v_fmac_f16_e32 v98, 0x3770, v43
	;; [unrolled: 1-line block ×3, first 2 shown]
	v_add_f16_e32 v87, v118, v87
	v_mul_f16_sdwa v118, v44, v38 dst_sel:DWORD dst_unused:UNUSED_PAD src0_sel:WORD_1 src1_sel:DWORD
	v_pack_b32_f16 v87, v104, v87
	v_fmamk_f16 v119, v43, 0xba95, v118
	v_fmac_f16_e32 v118, 0x3a95, v43
	v_add_f16_e32 v88, v119, v88
	v_pack_b32_f16 v3, v3, v88
	ds_write2_b32 v41, v3, v87 offset0:4 offset1:5
	v_fma_f16 v3, v62, 0x388b, -v69
	v_fma_f16 v69, v64, 0xb5ac, -v70
	v_add_f16_sdwa v70, v42, v71 dst_sel:DWORD dst_unused:UNUSED_PAD src0_sel:WORD_1 src1_sel:DWORD
	v_fma_f16 v71, v62, 0x2fb7, -v73
	v_add_f16_sdwa v73, v42, v76 dst_sel:DWORD dst_unused:UNUSED_PAD src0_sel:WORD_1 src1_sel:DWORD
	v_add_f16_e32 v3, v42, v3
	v_fma_f16 v76, v66, 0xbbc4, -v78
	v_add_f16_e32 v71, v42, v71
	v_add_f16_e32 v3, v69, v3
	;; [unrolled: 1-line block ×3, first 2 shown]
	v_fma_f16 v70, v62, 0xb5ac, -v72
	v_fma_f16 v72, v64, 0xbbc4, -v75
	;; [unrolled: 1-line block ×3, first 2 shown]
	v_add_f16_sdwa v75, v42, v100 dst_sel:DWORD dst_unused:UNUSED_PAD src0_sel:WORD_1 src1_sel:DWORD
	v_add_f16_e32 v3, v76, v3
	v_add_f16_e32 v70, v42, v70
	;; [unrolled: 1-line block ×4, first 2 shown]
	v_fma_f16 v73, v62, 0xb9fd, -v85
	v_fma_f16 v76, v66, 0x3b15, -v102
	v_add_f16_e32 v5, v5, v70
	v_pk_mul_f16 v62, 0xbbc4, v62 op_sel_hi:[0,1]
	v_pk_mul_f16 v64, 0x3b15, v64 op_sel_hi:[0,1]
	v_add_f16_e32 v73, v42, v73
	v_add_f16_sdwa v70, v42, v82 dst_sel:DWORD dst_unused:UNUSED_PAD src0_sel:WORD_1 src1_sel:DWORD
	v_add_f16_e32 v5, v76, v5
	v_fma_f16 v76, v68, 0x3b15, -v89
	v_pk_fma_f16 v77, 0x3770, v65, v64 op_sel:[0,0,1] op_sel_hi:[0,1,0]
	v_add_f16_e32 v73, v74, v73
	v_add_f16_e32 v74, v101, v75
	v_fma_f16 v75, v66, 0xb5ac, -v80
	v_pk_fma_f16 v64, 0x3770, v65, v64 op_sel:[0,0,1] op_sel_hi:[0,1,0] neg_lo:[0,1,0] neg_hi:[0,1,0]
	v_alignbit_b32 v78, s0, v77, 16
	v_add_f16_e32 v70, v83, v70
	v_add_f16_e32 v74, v107, v74
	;; [unrolled: 1-line block ×3, first 2 shown]
	v_fma_f16 v75, v66, 0x388b, -v106
	v_add_f16_e32 v69, v79, v69
	v_add_f16_e32 v70, v103, v70
	;; [unrolled: 1-line block ×5, first 2 shown]
	v_fma_f16 v75, v68, 0xb9fd, -v84
	v_fma_f16 v76, v68, 0xbbc4, -v110
	v_add_f16_e32 v70, v109, v70
	v_add_f16_e32 v74, v111, v74
	;; [unrolled: 1-line block ×4, first 2 shown]
	v_fma_f16 v75, v68, 0x2fb7, -v108
	v_add_f16_e32 v73, v76, v73
	v_fma_f16 v76, v51, 0xbbc4, -v112
	v_pk_mul_f16 v68, 0x388b, v68 op_sel_hi:[0,1]
	v_add_f16_e32 v72, v90, v72
	v_add_f16_e32 v5, v75, v5
	v_fma_f16 v75, v51, 0x2fb7, -v91
	v_add_f16_e32 v70, v114, v70
	v_add_f16_e32 v74, v113, v74
	;; [unrolled: 1-line block ×5, first 2 shown]
	v_fma_f16 v75, v51, 0x388b, -v94
	v_fma_f16 v76, v44, 0x3b15, -v96
	v_add_f16_e32 v72, v95, v72
	v_add_f16_e32 v70, v118, v70
	v_add_f16_e32 v69, v98, v69
	v_add_f16_e32 v71, v75, v71
	v_fma_f16 v75, v51, 0x3b15, -v115
	v_add_f16_e32 v3, v76, v3
	v_pk_fma_f16 v76, 0xb3a8, v63, v62 op_sel:[0,0,1] op_sel_hi:[0,1,0]
	v_pk_fma_f16 v62, 0xb3a8, v63, v62 op_sel:[0,0,1] op_sel_hi:[0,1,0] neg_lo:[0,1,0] neg_hi:[0,1,0]
	v_pk_mul_f16 v63, 0xb9fd, v66 op_sel_hi:[0,1]
	v_add_f16_e32 v73, v75, v73
	v_fma_f16 v75, v44, 0xb9fd, -v92
	v_alignbit_b32 v66, s0, v42, 16
	v_pk_add_f16 v62, v42, v62 op_sel:[1,0] op_sel_hi:[0,1]
	v_pk_fma_f16 v65, 0xb94e, v67, v63 op_sel:[0,0,1] op_sel_hi:[0,1,0]
	v_pk_fma_f16 v63, 0xb94e, v67, v63 op_sel:[0,0,1] op_sel_hi:[0,1,0] neg_lo:[0,1,0] neg_hi:[0,1,0]
	v_add_f16_e32 v71, v75, v71
	v_fma_f16 v75, v44, 0x388b, -v105
	v_pk_add_f16 v66, v66, v76
	v_pk_add_f16 v62, v64, v62
	v_pk_fma_f16 v64, 0x3a95, v46, v68 op_sel:[0,0,1] op_sel_hi:[0,1,0]
	v_pk_mul_f16 v51, 0xb5ac, v51 op_sel_hi:[0,1]
	v_add_f16_e32 v5, v75, v5
	v_alignbit_b32 v75, s0, v76, 16
	v_alignbit_b32 v76, s0, v65, 16
	v_pk_add_f16 v66, v77, v66
	v_pk_add_f16 v62, v63, v62
	v_pk_fma_f16 v46, 0x3a95, v46, v68 op_sel:[0,0,1] op_sel_hi:[0,1,0] neg_lo:[0,1,0] neg_hi:[0,1,0]
	v_pk_add_f16 v75, v42, v75
	v_alignbit_b32 v63, s0, v64, 16
	v_pk_add_f16 v65, v65, v66
	v_pk_fma_f16 v66, 0xbb7b, v45, v51 op_sel:[0,0,1] op_sel_hi:[0,1,0]
	v_pk_add_f16 v46, v46, v62
	v_pk_add_f16 v75, v78, v75
	v_pk_fma_f16 v45, 0xbb7b, v45, v51 op_sel:[0,0,1] op_sel_hi:[0,1,0] neg_lo:[0,1,0] neg_hi:[0,1,0]
	v_pk_add_f16 v42, v42, v58
	v_pk_mul_f16 v58, 0x2fb7, v44 op_sel_hi:[0,1]
	v_alignbit_b32 v51, s0, v66, 16
	v_pk_add_f16 v67, v76, v75
	v_pk_add_f16 v55, v64, v65
	;; [unrolled: 1-line block ×3, first 2 shown]
	v_pk_fma_f16 v46, 0x3bf1, v43, v58 op_sel:[0,0,1] op_sel_hi:[0,1,0]
	v_pk_add_f16 v42, v53, v42
	v_pk_add_f16 v59, v63, v67
	;; [unrolled: 1-line block ×3, first 2 shown]
	v_pk_fma_f16 v55, 0x3bf1, v43, v58 op_sel:[0,0,1] op_sel_hi:[0,1,0] neg_lo:[0,1,0] neg_hi:[0,1,0]
	v_alignbit_b32 v54, s0, v46, 16
	v_pk_add_f16 v42, v48, v42
	v_pk_add_f16 v51, v51, v59
	v_fma_f16 v44, v44, 0xb5ac, -v116
	v_pk_add_f16 v45, v55, v45
	v_pk_add_f16 v46, v46, v53
	;; [unrolled: 1-line block ×4, first 2 shown]
	v_bfi_b32 v47, 0xffff, v56, v49
	v_add_f16_e32 v44, v44, v73
	v_add_f16_e32 v48, v117, v74
	;; [unrolled: 1-line block ×3, first 2 shown]
	v_alignbit_b32 v46, v46, v45, 16
	v_pack_b32_f16 v43, v43, v45
	v_pk_add_f16 v42, v47, v42
	v_bfi_b32 v45, 0xffff, v57, v52
	v_pack_b32_f16 v5, v5, v70
	v_pack_b32_f16 v44, v44, v48
	;; [unrolled: 1-line block ×4, first 2 shown]
	v_pk_add_f16 v42, v45, v42
	ds_write2_b32 v41, v43, v46 offset0:6 offset1:7
	ds_write2_b32 v41, v44, v5 offset0:8 offset1:9
	ds_write2_b32 v41, v47, v3 offset0:10 offset1:11
	ds_write_b32 v41, v42 offset:48
	v_cmpx_gt_u32_e32 2, v29
	s_cbranch_execz .LBB0_15
; %bb.14:
	v_pk_add_f16 v3, v0, v27
	v_mul_i32_i24_e32 v46, 52, v33
	v_pk_add_f16 v47, v40, v27
	v_pk_add_f16 v48, v2, v25
	v_pk_add_f16 v42, v25, v2 neg_lo:[0,1] neg_hi:[0,1]
	v_pk_add_f16 v3, v3, v25
	v_pk_add_f16 v45, v6, v23
	v_pk_add_f16 v25, v23, v6 neg_lo:[0,1] neg_hi:[0,1]
	v_pk_add_f16 v43, v27, v40 neg_lo:[0,1] neg_hi:[0,1]
	v_pk_add_f16 v49, v4, v21
	v_pk_add_f16 v3, v3, v21
	v_pk_add_f16 v41, v21, v4 neg_lo:[0,1] neg_hi:[0,1]
	v_pk_add_f16 v44, v13, v19
	v_pk_add_f16 v21, v19, v13 neg_lo:[0,1] neg_hi:[0,1]
	v_pk_add_f16 v27, v15, v17
	v_pk_add_f16 v23, v3, v23
	v_add3_u32 v3, 0, v46, v32
	v_mul_f16_sdwa v46, v47, v24 dst_sel:DWORD dst_unused:UNUSED_PAD src0_sel:WORD_1 src1_sel:DWORD
	v_pk_add_f16 v5, v17, v15 neg_lo:[0,1] neg_hi:[0,1]
	v_mul_f16_sdwa v50, v48, v14 dst_sel:DWORD dst_unused:UNUSED_PAD src0_sel:WORD_1 src1_sel:DWORD
	v_pk_add_f16 v19, v23, v19
	v_mul_f16_sdwa v23, v49, v38 dst_sel:DWORD dst_unused:UNUSED_PAD src0_sel:WORD_1 src1_sel:DWORD
	v_fmamk_f16 v53, v43, 0x394e, v46
	v_mul_f16_sdwa v51, v45, v20 dst_sel:DWORD dst_unused:UNUSED_PAD src0_sel:WORD_1 src1_sel:DWORD
	v_fmamk_f16 v55, v42, 0xbbf1, v50
	v_pk_add_f16 v17, v19, v17
	v_mul_f16_sdwa v54, v43, v28 dst_sel:DWORD dst_unused:UNUSED_PAD src0_sel:WORD_1 src1_sel:DWORD
	v_add_f16_sdwa v53, v0, v53 dst_sel:DWORD dst_unused:UNUSED_PAD src0_sel:WORD_1 src1_sel:DWORD
	v_fmamk_f16 v57, v41, 0x3a95, v23
	v_mul_f16_sdwa v52, v44, v22 dst_sel:DWORD dst_unused:UNUSED_PAD src0_sel:WORD_1 src1_sel:DWORD
	v_pk_add_f16 v15, v17, v15
	v_mul_f16_sdwa v17, v42, v18 dst_sel:DWORD dst_unused:UNUSED_PAD src0_sel:WORD_1 src1_sel:DWORD
	v_add_f16_e32 v53, v55, v53
	v_fmamk_f16 v58, v25, 0xb3a8, v51
	v_mul_f16_sdwa v19, v27, v37 dst_sel:DWORD dst_unused:UNUSED_PAD src0_sel:WORD_1 src1_sel:DWORD
	v_pk_add_f16 v13, v15, v13
	v_mul_f16_sdwa v56, v41, v36 dst_sel:DWORD dst_unused:UNUSED_PAD src0_sel:WORD_1 src1_sel:DWORD
	v_add_f16_e32 v53, v57, v53
	v_fmamk_f16 v57, v21, 0xb770, v52
	v_fmamk_f16 v59, v48, 0x2fb7, v17
	v_pk_add_f16 v6, v13, v6
	v_fmamk_f16 v13, v47, 0xb9fd, v54
	v_add_f16_e32 v53, v58, v53
	v_mul_f16_sdwa v15, v25, v60 dst_sel:DWORD dst_unused:UNUSED_PAD src0_sel:WORD_1 src1_sel:DWORD
	v_fmamk_f16 v58, v49, 0x388b, v56
	v_pk_add_f16 v4, v6, v4
	v_add_f16_e32 v6, v0, v13
	v_fmamk_f16 v13, v5, 0x3b7b, v19
	v_add_f16_e32 v53, v57, v53
	v_mul_f16_sdwa v55, v47, v37 dst_sel:DWORD dst_unused:UNUSED_PAD src0_sel:WORD_1 src1_sel:DWORD
	v_pk_add_f16 v4, v4, v2
	v_add_f16_e32 v6, v59, v6
	v_mul_f16_sdwa v62, v5, v35 dst_sel:DWORD dst_unused:UNUSED_PAD src0_sel:WORD_1 src1_sel:DWORD
	v_add_f16_e32 v2, v13, v53
	v_fmamk_f16 v13, v45, 0xbbc4, v15
	v_pk_add_f16 v4, v4, v40
	v_add_f16_e32 v6, v58, v6
	v_mul_f16_sdwa v40, v21, v7 dst_sel:DWORD dst_unused:UNUSED_PAD src0_sel:WORD_1 src1_sel:DWORD
	v_mul_f16_sdwa v57, v48, v24 dst_sel:DWORD dst_unused:UNUSED_PAD src0_sel:WORD_1 src1_sel:DWORD
	v_fmamk_f16 v59, v43, 0x3b7b, v55
	v_mul_f16_sdwa v64, v43, v35 dst_sel:DWORD dst_unused:UNUSED_PAD src0_sel:WORD_1 src1_sel:DWORD
	v_add_f16_e32 v6, v13, v6
	v_fmamk_f16 v13, v44, 0x3b15, v40
	v_fmamk_f16 v58, v42, 0xb94e, v57
	v_add_f16_sdwa v53, v0, v59 dst_sel:DWORD dst_unused:UNUSED_PAD src0_sel:WORD_1 src1_sel:DWORD
	v_mul_f16_sdwa v59, v49, v22 dst_sel:DWORD dst_unused:UNUSED_PAD src0_sel:WORD_1 src1_sel:DWORD
	v_mul_f16_sdwa v66, v42, v16 dst_sel:DWORD dst_unused:UNUSED_PAD src0_sel:WORD_1 src1_sel:DWORD
	v_add_f16_e32 v6, v13, v6
	v_fmamk_f16 v13, v27, 0xb5ac, v62
	v_add_f16_e32 v53, v58, v53
	v_fmamk_f16 v58, v41, 0xb770, v59
	v_mul_f16_sdwa v63, v45, v14 dst_sel:DWORD dst_unused:UNUSED_PAD src0_sel:WORD_1 src1_sel:DWORD
	v_fmamk_f16 v68, v48, 0xb9fd, v66
	v_add_f16_e32 v6, v13, v6
	v_fmamk_f16 v13, v47, 0xb5ac, v64
	v_mul_f16_sdwa v69, v41, v7 dst_sel:DWORD dst_unused:UNUSED_PAD src0_sel:WORD_1 src1_sel:DWORD
	v_fmac_f16_e32 v46, 0xb94e, v43
	v_add_f16_e32 v53, v58, v53
	v_fmamk_f16 v58, v25, 0x3bf1, v63
	v_add_f16_e32 v13, v0, v13
	v_mul_f16_sdwa v65, v44, v20 dst_sel:DWORD dst_unused:UNUSED_PAD src0_sel:WORD_1 src1_sel:DWORD
	v_mul_f16_sdwa v71, v25, v39 dst_sel:DWORD dst_unused:UNUSED_PAD src0_sel:WORD_1 src1_sel:DWORD
	v_fma_f16 v54, v47, 0xb9fd, -v54
	v_add_f16_sdwa v46, v0, v46 dst_sel:DWORD dst_unused:UNUSED_PAD src0_sel:WORD_1 src1_sel:DWORD
	v_add_f16_e32 v13, v68, v13
	v_fmamk_f16 v68, v49, 0x3b15, v69
	v_fmac_f16_e32 v50, 0x3bf1, v42
	v_add_f16_e32 v53, v58, v53
	v_fmamk_f16 v58, v21, 0xb3a8, v65
	v_mul_f16_sdwa v67, v27, v38 dst_sel:DWORD dst_unused:UNUSED_PAD src0_sel:WORD_1 src1_sel:DWORD
	v_add_f16_e32 v13, v68, v13
	v_fmamk_f16 v68, v45, 0x2fb7, v71
	v_mul_f16_sdwa v60, v21, v60 dst_sel:DWORD dst_unused:UNUSED_PAD src0_sel:WORD_1 src1_sel:DWORD
	v_add_f16_e32 v54, v0, v54
	v_fma_f16 v17, v48, 0x2fb7, -v17
	v_add_f16_e32 v46, v50, v46
	v_fmac_f16_e32 v23, 0xba95, v41
	v_add_f16_e32 v53, v58, v53
	v_fmamk_f16 v58, v5, 0xba95, v67
	v_mul_f16_sdwa v70, v47, v14 dst_sel:DWORD dst_unused:UNUSED_PAD src0_sel:WORD_1 src1_sel:DWORD
	v_add_f16_e32 v13, v68, v13
	v_fmamk_f16 v68, v44, 0xbbc4, v60
	v_mul_f16_sdwa v61, v5, v61 dst_sel:DWORD dst_unused:UNUSED_PAD src0_sel:WORD_1 src1_sel:DWORD
	v_add_f16_e32 v17, v17, v54
	v_fma_f16 v54, v49, 0x388b, -v56
	v_add_f16_e32 v23, v23, v46
	;; [unrolled: 10-line block ×3, first 2 shown]
	v_fmac_f16_e32 v52, 0x3770, v21
	v_add_f16_sdwa v58, v0, v58 dst_sel:DWORD dst_unused:UNUSED_PAD src0_sel:WORD_1 src1_sel:DWORD
	v_fmamk_f16 v73, v42, 0x33a8, v72
	v_mul_f16_sdwa v74, v49, v37 dst_sel:DWORD dst_unused:UNUSED_PAD src0_sel:WORD_1 src1_sel:DWORD
	v_add_f16_e32 v13, v68, v13
	v_fmamk_f16 v68, v47, 0x2fb7, v39
	v_mul_f16_sdwa v77, v42, v1 dst_sel:DWORD dst_unused:UNUSED_PAD src0_sel:WORD_1 src1_sel:DWORD
	v_add_f16_e32 v15, v15, v17
	v_fma_f16 v17, v44, 0x3b15, -v40
	v_add_f16_e32 v23, v52, v23
	v_fmac_f16_e32 v19, 0xbb7b, v5
	v_add_f16_e32 v58, v73, v58
	v_fmamk_f16 v73, v41, 0xbb7b, v74
	v_mul_f16_sdwa v75, v45, v22 dst_sel:DWORD dst_unused:UNUSED_PAD src0_sel:WORD_1 src1_sel:DWORD
	v_add_f16_e32 v68, v0, v68
	v_fmamk_f16 v79, v48, 0xbbc4, v77
	v_mul_f16_sdwa v26, v41, v26 dst_sel:DWORD dst_unused:UNUSED_PAD src0_sel:WORD_1 src1_sel:DWORD
	v_add_f16_e32 v15, v17, v15
	v_fma_f16 v17, v27, 0xb5ac, -v62
	v_add_f16_e32 v19, v19, v23
	v_fma_f16 v23, v47, 0xb5ac, -v64
	v_add_f16_e32 v58, v73, v58
	v_fmamk_f16 v73, v25, 0xb770, v75
	v_mul_f16_sdwa v76, v44, v38 dst_sel:DWORD dst_unused:UNUSED_PAD src0_sel:WORD_1 src1_sel:DWORD
	v_add_f16_e32 v68, v79, v68
	v_fmamk_f16 v79, v49, 0xb5ac, v26
	v_mul_f16_sdwa v80, v25, v7 dst_sel:DWORD dst_unused:UNUSED_PAD src0_sel:WORD_1 src1_sel:DWORD
	v_add_f16_e32 v15, v17, v15
	v_add_f16_e32 v17, v0, v23
	v_fma_f16 v23, v48, 0xb9fd, -v66
	v_add_f16_e32 v58, v73, v58
	v_fmamk_f16 v73, v21, 0x3a95, v76
	v_mul_f16_sdwa v78, v27, v24 dst_sel:DWORD dst_unused:UNUSED_PAD src0_sel:WORD_1 src1_sel:DWORD
	v_add_f16_e32 v68, v79, v68
	v_fmamk_f16 v79, v45, 0x3b15, v80
	v_mul_f16_sdwa v81, v21, v36 dst_sel:DWORD dst_unused:UNUSED_PAD src0_sel:WORD_1 src1_sel:DWORD
	v_add_f16_e32 v17, v23, v17
	v_fma_f16 v23, v49, 0x3b15, -v69
	v_add_f16_e32 v58, v73, v58
	v_fmamk_f16 v73, v5, 0x394e, v78
	v_mul_f16_sdwa v38, v47, v38 dst_sel:DWORD dst_unused:UNUSED_PAD src0_sel:WORD_1 src1_sel:DWORD
	v_add_f16_e32 v68, v79, v68
	v_fmamk_f16 v79, v44, 0x388b, v81
	v_mul_f16_sdwa v28, v5, v28 dst_sel:DWORD dst_unused:UNUSED_PAD src0_sel:WORD_1 src1_sel:DWORD
	;; [unrolled: 8-line block ×3, first 2 shown]
	v_add_f16_e32 v17, v23, v17
	v_fma_f16 v23, v44, 0xbbc4, -v60
	v_fma_f16 v39, v47, 0x2fb7, -v39
	v_fmac_f16_e32 v38, 0xba95, v43
	v_add_f16_sdwa v73, v0, v73 dst_sel:DWORD dst_unused:UNUSED_PAD src0_sel:WORD_1 src1_sel:DWORD
	v_fmamk_f16 v82, v42, 0x3b7b, v37
	v_mul_f16_sdwa v20, v49, v20 dst_sel:DWORD dst_unused:UNUSED_PAD src0_sel:WORD_1 src1_sel:DWORD
	v_add_f16_e32 v68, v79, v68
	v_fmamk_f16 v79, v47, 0x388b, v36
	v_mul_f16_sdwa v35, v42, v35 dst_sel:DWORD dst_unused:UNUSED_PAD src0_sel:WORD_1 src1_sel:DWORD
	v_add_f16_e32 v17, v23, v17
	v_fma_f16 v23, v27, 0x388b, -v61
	v_add_f16_e32 v39, v0, v39
	v_fma_f16 v52, v48, 0xbbc4, -v77
	v_fma_f16 v36, v47, 0x388b, -v36
	v_add_f16_sdwa v38, v0, v38 dst_sel:DWORD dst_unused:UNUSED_PAD src0_sel:WORD_1 src1_sel:DWORD
	v_fmac_f16_e32 v37, 0xbb7b, v42
	v_add_f16_e32 v73, v82, v73
	v_fmamk_f16 v82, v41, 0x33a8, v20
	v_mul_f16_sdwa v24, v45, v24 dst_sel:DWORD dst_unused:UNUSED_PAD src0_sel:WORD_1 src1_sel:DWORD
	v_add_f16_e32 v79, v0, v79
	v_fmamk_f16 v83, v48, 0xb5ac, v35
	v_mul_f16_sdwa v1, v41, v1 dst_sel:DWORD dst_unused:UNUSED_PAD src0_sel:WORD_1 src1_sel:DWORD
	v_add_f16_e32 v17, v23, v17
	v_add_f16_e32 v23, v52, v39
	v_fma_f16 v26, v49, 0xb5ac, -v26
	v_add_f16_e32 v36, v0, v36
	v_fma_f16 v35, v48, 0xb5ac, -v35
	v_add_f16_e32 v37, v37, v38
	v_fmac_f16_e32 v20, 0xb3a8, v41
	v_add_f16_e32 v73, v82, v73
	v_fmamk_f16 v82, v25, 0xb94e, v24
	v_mul_f16_sdwa v14, v44, v14 dst_sel:DWORD dst_unused:UNUSED_PAD src0_sel:WORD_1 src1_sel:DWORD
	v_add_f16_e32 v79, v83, v79
	v_fmamk_f16 v83, v49, 0xbbc4, v1
	v_mul_f16_sdwa v16, v25, v16 dst_sel:DWORD dst_unused:UNUSED_PAD src0_sel:WORD_1 src1_sel:DWORD
	v_add_f16_e32 v23, v26, v23
	v_fma_f16 v26, v45, 0x3b15, -v80
	v_add_f16_e32 v35, v35, v36
	v_fma_f16 v1, v49, 0xbbc4, -v1
	v_add_f16_e32 v20, v20, v37
	v_fmac_f16_e32 v24, 0x394e, v25
	v_add_f16_e32 v73, v82, v73
	v_fmamk_f16 v82, v21, 0xbbf1, v14
	v_add_f16_e32 v79, v83, v79
	v_fmamk_f16 v83, v45, 0xb9fd, v16
	v_mul_f16_sdwa v18, v21, v18 dst_sel:DWORD dst_unused:UNUSED_PAD src0_sel:WORD_1 src1_sel:DWORD
	v_add_f16_e32 v23, v26, v23
	v_fma_f16 v26, v44, 0x388b, -v81
	v_add_f16_e32 v1, v1, v35
	v_fma_f16 v16, v45, 0xb9fd, -v16
	v_add_f16_e32 v20, v24, v20
	v_fmac_f16_e32 v14, 0x3bf1, v21
	v_pk_mul_f16 v24, 0xbbc4, v47 op_sel_hi:[0,1]
	v_mul_f16_sdwa v22, v27, v22 dst_sel:DWORD dst_unused:UNUSED_PAD src0_sel:WORD_1 src1_sel:DWORD
	v_add_f16_e32 v73, v82, v73
	v_pk_mul_f16 v82, 0xb770, v43 op_sel_hi:[0,1]
	v_add_f16_e32 v79, v83, v79
	v_fmamk_f16 v83, v44, 0x2fb7, v18
	v_mul_f16_sdwa v7, v5, v7 dst_sel:DWORD dst_unused:UNUSED_PAD src0_sel:WORD_1 src1_sel:DWORD
	v_add_f16_e32 v23, v26, v23
	v_fma_f16 v26, v27, 0xb9fd, -v28
	v_add_f16_e32 v1, v16, v1
	v_fma_f16 v16, v44, 0x2fb7, -v18
	v_add_f16_e32 v14, v14, v20
	v_pk_fma_f16 v18, 0xb3a8, v43, v24 op_sel:[0,0,1] op_sel_hi:[0,1,0]
	v_pk_mul_f16 v20, 0x3b15, v48 op_sel_hi:[0,1]
	v_fmamk_f16 v84, v5, 0xb770, v22
	v_pk_fma_f16 v85, 0x3b15, v47, v82 op_sel:[0,0,1] op_sel_hi:[0,1,0]
	v_pk_fma_f16 v82, 0x3b15, v47, v82 op_sel:[0,0,1] op_sel_hi:[0,1,0] neg_lo:[0,0,1] neg_hi:[0,0,1]
	v_pk_mul_f16 v86, 0xba95, v42 op_sel_hi:[0,1]
	v_fmamk_f16 v93, v27, 0x3b15, v7
	v_add_f16_e32 v23, v26, v23
	v_fmac_f16_e32 v22, 0x3770, v5
	v_add_f16_e32 v1, v16, v1
	v_fma_f16 v7, v27, 0x3b15, -v7
	v_alignbit_b32 v16, s0, v18, 16
	v_pk_fma_f16 v26, 0x3770, v42, v20 op_sel:[0,0,1] op_sel_hi:[0,1,0]
	v_pk_mul_f16 v28, 0xb9fd, v49 op_sel_hi:[0,1]
	v_bfi_b32 v87, 0xffff, v85, v82
	v_pk_fma_f16 v88, 0x388b, v48, v86 op_sel:[0,0,1] op_sel_hi:[0,1,0]
	v_pk_fma_f16 v86, 0x388b, v48, v86 op_sel:[0,0,1] op_sel_hi:[0,1,0] neg_lo:[0,0,1] neg_hi:[0,0,1]
	v_pk_mul_f16 v89, 0xbbf1, v41 op_sel_hi:[0,1]
	v_add_f16_e32 v14, v22, v14
	v_add_f16_e32 v1, v7, v1
	v_pk_add_f16 v7, v0, v16
	v_alignbit_b32 v16, s0, v26, 16
	v_pk_fma_f16 v22, 0xb94e, v41, v28 op_sel:[0,0,1] op_sel_hi:[0,1,0]
	v_pk_mul_f16 v35, 0x388b, v45 op_sel_hi:[0,1]
	v_pk_add_f16 v87, v0, v87
	v_bfi_b32 v90, 0xffff, v88, v86
	v_pk_fma_f16 v91, 0x2fb7, v49, v89 op_sel:[0,0,1] op_sel_hi:[0,1,0]
	v_pk_fma_f16 v89, 0x2fb7, v49, v89 op_sel:[0,0,1] op_sel_hi:[0,1,0] neg_lo:[0,0,1] neg_hi:[0,0,1]
	v_pk_mul_f16 v92, 0xbb7b, v25 op_sel_hi:[0,1]
	v_pk_add_f16 v7, v16, v7
	v_alignbit_b32 v16, s0, v22, 16
	v_pk_fma_f16 v36, 0x3a95, v25, v35 op_sel:[0,0,1] op_sel_hi:[0,1,0]
	v_pk_mul_f16 v37, 0xb5ac, v44 op_sel_hi:[0,1]
	v_add_f16_e32 v79, v83, v79
	v_pk_add_f16 v83, v90, v87
	v_bfi_b32 v87, 0xffff, v91, v89
	v_pk_fma_f16 v90, 0xb5ac, v45, v92 op_sel:[0,0,1] op_sel_hi:[0,1,0]
	v_pk_fma_f16 v92, 0xb5ac, v45, v92 op_sel:[0,0,1] op_sel_hi:[0,1,0] neg_lo:[0,0,1] neg_hi:[0,0,1]
	v_add_f16_e32 v73, v84, v73
	v_pk_mul_f16 v84, 0xb94e, v21 op_sel_hi:[0,1]
	v_fmac_f16_e32 v55, 0xbb7b, v43
	v_fmac_f16_e32 v70, 0xbbf1, v43
	v_alignbit_b32 v38, s0, v0, 16
	v_pk_fma_f16 v24, 0xb3a8, v43, v24 op_sel:[0,0,1] op_sel_hi:[0,1,0] neg_lo:[0,1,0] neg_hi:[0,1,0]
	v_pk_add_f16 v7, v16, v7
	v_alignbit_b32 v16, s0, v36, 16
	v_pk_fma_f16 v43, 0xbb7b, v21, v37 op_sel:[0,0,1] op_sel_hi:[0,1,0]
	v_pk_add_f16 v83, v87, v83
	v_bfi_b32 v87, 0xffff, v90, v92
	v_add_f16_e32 v79, v93, v79
	v_pk_fma_f16 v93, 0xb9fd, v44, v84 op_sel:[0,0,1] op_sel_hi:[0,1,0]
	v_pk_fma_f16 v84, 0xb9fd, v44, v84 op_sel:[0,0,1] op_sel_hi:[0,1,0] neg_lo:[0,0,1] neg_hi:[0,0,1]
	v_pk_mul_f16 v94, 0xb3a8, v5 op_sel_hi:[0,1]
	v_pk_add_f16 v18, v38, v18
	v_pk_add_f16 v24, v0, v24 op_sel:[1,0] op_sel_hi:[0,1]
	v_pk_fma_f16 v20, 0x3770, v42, v20 op_sel:[0,0,1] op_sel_hi:[0,1,0] neg_lo:[0,1,0] neg_hi:[0,1,0]
	v_pk_add_f16 v7, v16, v7
	v_alignbit_b32 v16, s0, v43, 16
	v_add_f16_sdwa v40, v0, v55 dst_sel:DWORD dst_unused:UNUSED_PAD src0_sel:WORD_1 src1_sel:DWORD
	v_fmac_f16_e32 v57, 0x394e, v42
	v_add_f16_sdwa v51, v0, v70 dst_sel:DWORD dst_unused:UNUSED_PAD src0_sel:WORD_1 src1_sel:DWORD
	v_fmac_f16_e32 v72, 0xb3a8, v42
	v_pk_add_f16 v83, v87, v83
	v_bfi_b32 v87, 0xffff, v93, v84
	v_pk_fma_f16 v50, 0xbbc4, v27, v94 op_sel:[0,0,1] op_sel_hi:[0,1,0]
	v_pk_fma_f16 v94, 0xbbc4, v27, v94 op_sel:[0,0,1] op_sel_hi:[0,1,0] neg_lo:[0,0,1] neg_hi:[0,0,1]
	v_pk_add_f16 v18, v26, v18
	v_pk_add_f16 v20, v20, v24
	v_pk_fma_f16 v24, 0xb94e, v41, v28 op_sel:[0,0,1] op_sel_hi:[0,1,0] neg_lo:[0,1,0] neg_hi:[0,1,0]
	v_pk_add_f16 v7, v16, v7
	v_bfi_b32 v16, 0xffff, v82, v85
	v_add_f16_e32 v40, v57, v40
	v_fmac_f16_e32 v59, 0x3770, v41
	v_add_f16_e32 v51, v72, v51
	v_fmac_f16_e32 v74, 0x3b7b, v41
	v_pk_add_f16 v46, v87, v83
	v_bfi_b32 v56, 0xffff, v50, v94
	v_pk_mul_f16 v26, 0x2fb7, v27 op_sel_hi:[0,1]
	v_pk_add_f16 v18, v22, v18
	v_pk_add_f16 v20, v24, v20
	v_pk_fma_f16 v22, 0x3a95, v25, v35 op_sel:[0,0,1] op_sel_hi:[0,1,0] neg_lo:[0,1,0] neg_hi:[0,1,0]
	v_pk_add_f16 v0, v0, v16
	v_bfi_b32 v16, 0xffff, v86, v88
	v_add_f16_e32 v40, v59, v40
	v_fmac_f16_e32 v63, 0xbbf1, v25
	v_add_f16_e32 v51, v74, v51
	v_fmac_f16_e32 v75, 0x3770, v25
	v_pk_add_f16 v46, v56, v46
	v_fmac_f16_e32 v65, 0x33a8, v21
	v_fmac_f16_e32 v76, 0xba95, v21
	v_pk_fma_f16 v24, 0x3bf1, v5, v26 op_sel:[0,0,1] op_sel_hi:[0,1,0]
	v_pk_add_f16 v18, v36, v18
	v_pk_add_f16 v20, v22, v20
	v_pk_fma_f16 v21, 0xbb7b, v21, v37 op_sel:[0,0,1] op_sel_hi:[0,1,0] neg_lo:[0,1,0] neg_hi:[0,1,0]
	v_pk_add_f16 v0, v16, v0
	v_bfi_b32 v16, 0xffff, v89, v91
	v_add_f16_e32 v40, v63, v40
	v_add_f16_e32 v51, v75, v51
	v_fmac_f16_e32 v67, 0x3a95, v5
	v_fmac_f16_e32 v78, 0xb94e, v5
	ds_write2_b32 v3, v4, v46 offset1:1
	v_pack_b32_f16 v4, v68, v58
	v_pack_b32_f16 v38, v79, v73
	v_alignbit_b32 v22, s0, v24, 16
	v_pk_add_f16 v18, v43, v18
	v_pk_add_f16 v20, v21, v20
	v_pk_fma_f16 v5, 0x3bf1, v5, v26 op_sel:[0,0,1] op_sel_hi:[0,1,0] neg_lo:[0,1,0] neg_hi:[0,1,0]
	v_pk_add_f16 v0, v16, v0
	v_bfi_b32 v16, 0xffff, v92, v90
	v_add_f16_e32 v40, v65, v40
	v_add_f16_e32 v51, v76, v51
	ds_write2_b32 v3, v38, v4 offset0:2 offset1:3
	v_pk_add_f16 v4, v22, v7
	v_pk_add_f16 v7, v24, v18
	;; [unrolled: 1-line block ×4, first 2 shown]
	v_bfi_b32 v16, 0xffff, v84, v93
	v_add_f16_e32 v40, v67, v40
	v_add_f16_e32 v39, v78, v51
	v_alignbit_b32 v7, v7, v5, 16
	v_pack_b32_f16 v4, v4, v5
	v_pk_add_f16 v0, v16, v0
	v_bfi_b32 v5, 0xffff, v94, v50
	v_pack_b32_f16 v2, v6, v2
	v_pack_b32_f16 v6, v13, v53
	;; [unrolled: 1-line block ×6, first 2 shown]
	v_pk_add_f16 v0, v5, v0
	ds_write2_b32 v3, v6, v2 offset0:4 offset1:5
	ds_write2_b32 v3, v4, v7 offset0:6 offset1:7
	;; [unrolled: 1-line block ×4, first 2 shown]
	ds_write_b32 v3, v0 offset:48
.LBB0_15:
	s_or_b32 exec_lo, exec_lo, s1
	v_mov_b32_e32 v13, 0
	v_add_nc_u32_e32 v28, 26, v29
	s_waitcnt lgkmcnt(0)
	s_barrier
	buffer_gl0_inv
	v_lshlrev_b64 v[0:1], 2, v[12:13]
	v_lshlrev_b32_e32 v12, 2, v33
	v_lshlrev_b32_e32 v35, 1, v33
	;; [unrolled: 1-line block ×3, first 2 shown]
	v_mov_b32_e32 v44, 2
	v_mov_b32_e32 v36, v13
	v_add_co_u32 v0, s0, s12, v0
	v_add_co_ci_u32_e64 v1, s0, s13, v1, s0
	v_add3_u32 v23, 0, v12, v32
	v_lshlrev_b32_e32 v12, 1, v29
	v_mov_b32_e32 v38, v13
	global_load_dwordx4 v[4:7], v[0:1], off
	v_and_b32_e32 v0, 0xff, v28
	v_mov_b32_e32 v1, 4
	v_lshlrev_b64 v[41:42], 2, v[12:13]
	v_lshlrev_b64 v[35:36], 2, v[35:36]
	v_mov_b32_e32 v40, v13
	v_mul_lo_u16 v0, 0x4f, v0
	v_add_nc_u32_e32 v39, 0x4e, v12
	v_lshlrev_b64 v[37:38], 2, v[37:38]
	v_add_co_u32 v41, s0, s12, v41
	v_lshrrev_b16 v0, 10, v0
	v_add_nc_u32_e32 v12, 0x68, v12
	v_add_co_ci_u32_e64 v42, s0, s13, v42, s0
	v_lshlrev_b64 v[39:40], 2, v[39:40]
	v_mul_lo_u16 v0, v0, 13
	v_add_co_u32 v35, s0, s12, v35
	v_add_co_ci_u32_e64 v36, s0, s13, v36, s0
	v_sub_nc_u16 v43, v28, v0
	v_lshlrev_b64 v[12:13], 2, v[12:13]
	v_lshlrev_b32_sdwa v0, v1, v43 dst_sel:DWORD dst_unused:UNUSED_PAD src0_sel:DWORD src1_sel:BYTE_0
	v_lshlrev_b32_sdwa v43, v44, v43 dst_sel:DWORD dst_unused:UNUSED_PAD src0_sel:DWORD src1_sel:BYTE_0
	global_load_dwordx4 v[0:3], v0, s[12:13]
	ds_read_b32 v22, v34
	ds_read2_b32 v[14:15], v31 offset0:26 offset1:39
	ds_read2_b32 v[24:25], v31 offset0:78 offset1:91
	;; [unrolled: 1-line block ×6, first 2 shown]
	ds_read_b32 v28, v23
	ds_read_b32 v33, v31 offset:728
	v_add3_u32 v32, 0, v43, v32
	s_waitcnt vmcnt(0) lgkmcnt(0)
	s_barrier
	buffer_gl0_inv
	v_lshrrev_b32_e32 v45, 16, v22
	v_lshrrev_b32_e32 v55, 16, v15
	;; [unrolled: 1-line block ×15, first 2 shown]
	v_mul_f16_sdwa v43, v4, v55 dst_sel:DWORD dst_unused:UNUSED_PAD src0_sel:WORD_1 src1_sel:DWORD
	v_mul_f16_sdwa v59, v4, v15 dst_sel:DWORD dst_unused:UNUSED_PAD src0_sel:WORD_1 src1_sel:DWORD
	;; [unrolled: 1-line block ×6, first 2 shown]
	v_mul_f16_sdwa v64, v46, v7 dst_sel:DWORD dst_unused:UNUSED_PAD src0_sel:DWORD src1_sel:WORD_1
	v_mul_f16_sdwa v65, v26, v7 dst_sel:DWORD dst_unused:UNUSED_PAD src0_sel:DWORD src1_sel:WORD_1
	;; [unrolled: 1-line block ×10, first 2 shown]
	v_fmac_f16_e32 v43, v4, v15
	v_fma_f16 v15, v4, v55, -v59
	v_fmac_f16_e32 v60, v5, v24
	v_fma_f16 v24, v5, v56, -v61
	;; [unrolled: 2-line block ×5, first 2 shown]
	v_fmac_f16_e32 v68, v25, v5
	v_fmac_f16_e32 v70, v18, v6
	;; [unrolled: 1-line block ×3, first 2 shown]
	v_fma_f16 v5, v48, v5, -v69
	v_fma_f16 v6, v49, v6, -v71
	;; [unrolled: 1-line block ×3, first 2 shown]
	v_add_f16_e32 v18, v22, v43
	v_add_f16_e32 v20, v60, v62
	v_sub_f16_e32 v25, v15, v26
	v_sub_f16_e32 v46, v43, v60
	;; [unrolled: 1-line block ×3, first 2 shown]
	v_add_f16_e32 v48, v43, v64
	v_sub_f16_e32 v49, v60, v43
	v_sub_f16_e32 v50, v62, v64
	v_add_f16_e32 v55, v45, v15
	v_add_f16_e32 v56, v24, v17
	v_sub_f16_e32 v59, v15, v24
	v_add_f16_e32 v63, v15, v26
	v_sub_f16_e32 v15, v24, v15
	v_sub_f16_e32 v65, v17, v26
	v_add_f16_e32 v67, v28, v66
	v_add_f16_e32 v69, v68, v70
	v_sub_f16_e32 v74, v66, v68
	v_sub_f16_e32 v75, v72, v70
	v_add_f16_e32 v79, v58, v4
	v_add_f16_e32 v76, v66, v72
	v_sub_f16_e32 v27, v24, v17
	v_sub_f16_e32 v57, v60, v62
	;; [unrolled: 1-line block ×7, first 2 shown]
	v_add_f16_e32 v80, v5, v6
	v_sub_f16_e32 v81, v68, v70
	v_sub_f16_e32 v82, v4, v5
	v_add_f16_e32 v84, v4, v7
	v_sub_f16_e32 v4, v5, v4
	v_add_f16_e32 v18, v18, v60
	v_fma_f16 v20, -0.5, v20, v22
	v_add_f16_e32 v46, v46, v47
	v_fmac_f16_e32 v22, -0.5, v48
	v_add_f16_e32 v47, v49, v50
	v_add_f16_e32 v24, v55, v24
	v_fma_f16 v48, -0.5, v56, v45
	v_fmac_f16_e32 v45, -0.5, v63
	v_add_f16_e32 v15, v15, v65
	v_add_f16_e32 v50, v67, v68
	v_fma_f16 v55, -0.5, v69, v28
	v_add_f16_e32 v56, v74, v75
	v_add_f16_e32 v5, v79, v5
	v_mul_f16_sdwa v63, v52, v0 dst_sel:DWORD dst_unused:UNUSED_PAD src0_sel:DWORD src1_sel:WORD_1
	v_mul_f16_sdwa v65, v21, v0 dst_sel:DWORD dst_unused:UNUSED_PAD src0_sel:DWORD src1_sel:WORD_1
	;; [unrolled: 1-line block ×6, first 2 shown]
	v_fmac_f16_e32 v28, -0.5, v76
	v_mul_f16_sdwa v75, v44, v3 dst_sel:DWORD dst_unused:UNUSED_PAD src0_sel:DWORD src1_sel:WORD_1
	v_mul_f16_sdwa v76, v33, v3 dst_sel:DWORD dst_unused:UNUSED_PAD src0_sel:DWORD src1_sel:WORD_1
	v_sub_f16_e32 v43, v43, v64
	v_add_f16_e32 v49, v59, v61
	v_add_f16_e32 v59, v77, v78
	v_fma_f16 v60, -0.5, v80, v58
	v_fmac_f16_e32 v58, -0.5, v84
	v_add_f16_e32 v18, v18, v62
	v_fmamk_f16 v78, v57, 0xbb9c, v45
	v_fmac_f16_e32 v45, 0x3b9c, v57
	v_add_f16_e32 v50, v50, v70
	v_add_f16_e32 v5, v5, v6
	v_fmac_f16_e32 v63, v21, v0
	v_fma_f16 v0, v52, v0, -v65
	v_fmac_f16_e32 v67, v16, v1
	v_fma_f16 v1, v53, v1, -v68
	;; [unrolled: 2-line block ×3, first 2 shown]
	v_fmamk_f16 v77, v27, 0x3b9c, v22
	v_fmac_f16_e32 v22, 0xbb9c, v27
	v_fmac_f16_e32 v75, v33, v3
	v_fma_f16 v3, v44, v3, -v76
	v_sub_f16_e32 v66, v66, v72
	v_sub_f16_e32 v85, v6, v7
	v_fmamk_f16 v62, v25, 0xbb9c, v20
	v_add_f16_e32 v17, v24, v17
	v_fmamk_f16 v24, v43, 0x3b9c, v48
	v_fmac_f16_e32 v48, 0xbb9c, v43
	v_fmamk_f16 v80, v81, 0xbb9c, v58
	v_fmac_f16_e32 v58, 0x3b9c, v81
	v_add_f16_e32 v16, v18, v64
	v_fmac_f16_e32 v78, 0x38b4, v43
	v_fmac_f16_e32 v45, 0xb8b4, v43
	v_add_f16_e32 v18, v50, v72
	v_add_f16_e32 v5, v5, v7
	;; [unrolled: 1-line block ×5, first 2 shown]
	v_fmac_f16_e32 v22, 0x38b4, v25
	v_add_f16_e32 v33, v63, v75
	v_add_f16_e32 v64, v0, v3
	v_fmac_f16_e32 v20, 0x3b9c, v25
	v_sub_f16_e32 v83, v7, v6
	v_add_f16_e32 v4, v4, v85
	v_fmac_f16_e32 v62, 0xb8b4, v27
	v_fmac_f16_e32 v77, 0xb8b4, v25
	v_add_f16_e32 v17, v17, v26
	v_fmac_f16_e32 v24, 0x38b4, v57
	v_fmac_f16_e32 v48, 0xb8b4, v57
	;; [unrolled: 1-line block ×4, first 2 shown]
	v_add_f16_e32 v7, v14, v63
	v_sub_f16_e32 v21, v0, v3
	v_sub_f16_e32 v25, v1, v2
	;; [unrolled: 1-line block ×7, first 2 shown]
	v_fmac_f16_e32 v78, 0x34f2, v15
	v_fmac_f16_e32 v45, 0x34f2, v15
	v_pack_b32_f16 v5, v18, v5
	v_fma_f16 v15, -0.5, v19, v14
	v_add_f16_e32 v1, v50, v1
	v_fma_f16 v18, -0.5, v52, v51
	v_sub_f16_e32 v54, v67, v69
	v_fmac_f16_e32 v22, 0x34f2, v47
	v_fmac_f16_e32 v14, -0.5, v33
	v_fmac_f16_e32 v51, -0.5, v64
	v_fmac_f16_e32 v20, 0x38b4, v27
	v_fmamk_f16 v70, v71, 0xbb9c, v55
	v_fmamk_f16 v79, v73, 0x3b9c, v28
	;; [unrolled: 1-line block ×3, first 2 shown]
	v_fmac_f16_e32 v55, 0x3b9c, v71
	v_fmac_f16_e32 v28, 0xbb9c, v73
	;; [unrolled: 1-line block ×3, first 2 shown]
	v_sub_f16_e32 v26, v63, v67
	v_sub_f16_e32 v27, v75, v69
	;; [unrolled: 1-line block ×4, first 2 shown]
	v_fmac_f16_e32 v62, 0x34f2, v46
	v_fmac_f16_e32 v24, 0x34f2, v49
	;; [unrolled: 1-line block ×4, first 2 shown]
	v_pack_b32_f16 v4, v16, v17
	v_add_f16_e32 v7, v7, v67
	v_add_f16_e32 v17, v43, v44
	v_fmamk_f16 v43, v21, 0xbb9c, v15
	v_add_f16_e32 v1, v1, v2
	v_fmamk_f16 v2, v53, 0x3b9c, v18
	v_fmac_f16_e32 v77, 0x34f2, v47
	v_pack_b32_f16 v22, v22, v45
	v_fmamk_f16 v44, v25, 0x3b9c, v14
	v_fmac_f16_e32 v14, 0xbb9c, v25
	v_fmamk_f16 v45, v54, 0xbb9c, v51
	v_fmac_f16_e32 v51, 0x3b9c, v54
	v_fmac_f16_e32 v20, 0x34f2, v46
	;; [unrolled: 1-line block ×5, first 2 shown]
	v_add_f16_e32 v61, v82, v83
	v_fmac_f16_e32 v70, 0xb8b4, v73
	v_fmac_f16_e32 v79, 0xb8b4, v71
	;; [unrolled: 1-line block ×6, first 2 shown]
	v_add_f16_e32 v16, v26, v27
	v_add_f16_e32 v19, v57, v63
	v_pack_b32_f16 v24, v62, v24
	v_add_f16_e32 v7, v7, v69
	v_fmac_f16_e32 v43, 0xb8b4, v25
	v_fmac_f16_e32 v2, 0x38b4, v54
	v_add_f16_e32 v0, v0, v65
	v_pack_b32_f16 v26, v77, v78
	v_fmac_f16_e32 v44, 0xb8b4, v21
	v_fmac_f16_e32 v14, 0x38b4, v21
	;; [unrolled: 1-line block ×4, first 2 shown]
	v_pack_b32_f16 v20, v20, v48
	v_fmac_f16_e32 v15, 0x38b4, v25
	v_fmac_f16_e32 v18, 0xb8b4, v54
	;; [unrolled: 1-line block ×8, first 2 shown]
	ds_write2_b32 v31, v4, v24 offset1:13
	ds_write2_b32 v31, v26, v22 offset0:26 offset1:39
	ds_write2_b32 v31, v20, v5 offset0:52 offset1:65
	v_add_f16_e32 v4, v7, v75
	v_add_f16_e32 v1, v1, v3
	v_fmac_f16_e32 v43, 0x34f2, v16
	v_fmac_f16_e32 v2, 0x34f2, v19
	;; [unrolled: 1-line block ×8, first 2 shown]
	v_pack_b32_f16 v6, v70, v6
	v_pack_b32_f16 v27, v79, v80
	;; [unrolled: 1-line block ×9, first 2 shown]
	ds_write2_b32 v31, v6, v27 offset0:78 offset1:91
	ds_write2_b32 v31, v28, v33 offset0:104 offset1:117
	;; [unrolled: 1-line block ×4, first 2 shown]
	ds_write_b32 v32, v4 offset:728
	v_add_co_u32 v2, s0, s12, v37
	v_add_co_ci_u32_e64 v3, s0, s13, v38, s0
	v_add_co_u32 v6, s0, s12, v39
	v_add_co_ci_u32_e64 v7, s0, s13, v40, s0
	v_add_co_u32 v12, s0, s12, v12
	s_waitcnt lgkmcnt(0)
	s_barrier
	buffer_gl0_inv
	s_clause 0x2
	global_load_dwordx2 v[0:1], v[41:42], off offset:208
	global_load_dwordx2 v[4:5], v[35:36], off offset:208
	;; [unrolled: 1-line block ×3, first 2 shown]
	v_add_co_ci_u32_e64 v13, s0, s13, v13, s0
	s_clause 0x1
	global_load_dwordx2 v[6:7], v[6:7], off offset:208
	global_load_dwordx2 v[12:13], v[12:13], off offset:208
	ds_read_b32 v22, v34
	ds_read_b32 v28, v23
	ds_read2_b32 v[14:15], v31 offset0:26 offset1:39
	ds_read2_b32 v[16:17], v31 offset0:156 offset1:169
	;; [unrolled: 1-line block ×4, first 2 shown]
	ds_read_b32 v32, v31 offset:728
	ds_read2_b32 v[24:25], v31 offset0:130 offset1:143
	ds_read2_b32 v[26:27], v31 offset0:78 offset1:91
	ds_read_u16 v33, v31 offset:366
	s_waitcnt vmcnt(0) lgkmcnt(0)
	s_barrier
	buffer_gl0_inv
	v_lshrrev_b32_e32 v34, 16, v22
	v_lshrrev_b32_e32 v35, 16, v28
	;; [unrolled: 1-line block ×14, first 2 shown]
	v_mul_f16_sdwa v48, v0, v43 dst_sel:DWORD dst_unused:UNUSED_PAD src0_sel:WORD_1 src1_sel:DWORD
	v_mul_f16_sdwa v49, v0, v21 dst_sel:DWORD dst_unused:UNUSED_PAD src0_sel:WORD_1 src1_sel:DWORD
	;; [unrolled: 1-line block ×8, first 2 shown]
	v_mul_f16_sdwa v56, v33, v2 dst_sel:DWORD dst_unused:UNUSED_PAD src0_sel:DWORD src1_sel:WORD_1
	v_mul_f16_sdwa v57, v2, v27 dst_sel:DWORD dst_unused:UNUSED_PAD src0_sel:WORD_1 src1_sel:DWORD
	v_mul_f16_sdwa v58, v37, v3 dst_sel:DWORD dst_unused:UNUSED_PAD src0_sel:DWORD src1_sel:WORD_1
	v_mul_f16_sdwa v59, v16, v3 dst_sel:DWORD dst_unused:UNUSED_PAD src0_sel:DWORD src1_sel:WORD_1
	v_mul_f16_sdwa v60, v39, v6 dst_sel:DWORD dst_unused:UNUSED_PAD src0_sel:DWORD src1_sel:WORD_1
	v_mul_f16_sdwa v61, v18, v6 dst_sel:DWORD dst_unused:UNUSED_PAD src0_sel:DWORD src1_sel:WORD_1
	v_mul_f16_sdwa v62, v40, v7 dst_sel:DWORD dst_unused:UNUSED_PAD src0_sel:DWORD src1_sel:WORD_1
	v_mul_f16_sdwa v63, v17, v7 dst_sel:DWORD dst_unused:UNUSED_PAD src0_sel:DWORD src1_sel:WORD_1
	v_mul_f16_sdwa v64, v42, v12 dst_sel:DWORD dst_unused:UNUSED_PAD src0_sel:DWORD src1_sel:WORD_1
	v_mul_f16_sdwa v65, v19, v12 dst_sel:DWORD dst_unused:UNUSED_PAD src0_sel:DWORD src1_sel:WORD_1
	v_mul_f16_sdwa v66, v44, v13 dst_sel:DWORD dst_unused:UNUSED_PAD src0_sel:DWORD src1_sel:WORD_1
	v_mul_f16_sdwa v67, v32, v13 dst_sel:DWORD dst_unused:UNUSED_PAD src0_sel:DWORD src1_sel:WORD_1
	v_fmac_f16_e32 v48, v0, v21
	v_fma_f16 v0, v0, v43, -v49
	v_fmac_f16_e32 v50, v1, v24
	v_fma_f16 v1, v1, v45, -v51
	;; [unrolled: 2-line block ×10, first 2 shown]
	v_add_f16_e32 v16, v22, v48
	v_add_f16_e32 v17, v48, v50
	v_sub_f16_e32 v18, v0, v1
	v_add_f16_e32 v19, v34, v0
	v_add_f16_e32 v0, v0, v1
	;; [unrolled: 1-line block ×3, first 2 shown]
	v_sub_f16_e32 v26, v4, v5
	v_add_f16_e32 v27, v35, v4
	v_add_f16_e32 v4, v4, v5
	v_sub_f16_e32 v21, v48, v50
	v_add_f16_e32 v24, v28, v52
	v_sub_f16_e32 v32, v52, v54
	;; [unrolled: 2-line block ×3, first 2 shown]
	v_add_f16_e32 v40, v36, v2
	v_add_f16_e32 v2, v2, v3
	v_add_f16_e32 v44, v60, v62
	v_sub_f16_e32 v45, v6, v7
	v_add_f16_e32 v46, v38, v6
	v_add_f16_e32 v6, v6, v7
	;; [unrolled: 1-line block ×3, first 2 shown]
	v_sub_f16_e32 v51, v12, v13
	v_add_f16_e32 v52, v41, v12
	v_add_f16_e32 v12, v12, v13
	;; [unrolled: 1-line block ×3, first 2 shown]
	v_fmac_f16_e32 v22, -0.5, v17
	v_add_f16_e32 v1, v19, v1
	v_fmac_f16_e32 v34, -0.5, v0
	v_add_f16_e32 v33, v14, v56
	v_add_f16_e32 v48, v20, v64
	v_fmac_f16_e32 v28, -0.5, v25
	v_fmac_f16_e32 v35, -0.5, v4
	v_add_f16_e32 v43, v15, v60
	v_sub_f16_e32 v42, v56, v58
	v_sub_f16_e32 v47, v60, v62
	;; [unrolled: 1-line block ×3, first 2 shown]
	v_fma_f16 v14, -0.5, v37, v14
	v_fmac_f16_e32 v36, -0.5, v2
	v_fmac_f16_e32 v15, -0.5, v44
	;; [unrolled: 1-line block ×5, first 2 shown]
	v_fmamk_f16 v12, v18, 0xbaee, v22
	v_fmamk_f16 v17, v21, 0x3aee, v34
	v_pack_b32_f16 v1, v16, v1
	v_add_f16_e32 v0, v24, v54
	v_add_f16_e32 v5, v27, v5
	v_fmac_f16_e32 v22, 0x3aee, v18
	v_fmac_f16_e32 v34, 0xbaee, v21
	v_add_f16_e32 v4, v33, v58
	v_add_f16_e32 v3, v40, v3
	;; [unrolled: 1-line block ×4, first 2 shown]
	v_fmamk_f16 v18, v26, 0xbaee, v28
	v_fmamk_f16 v19, v32, 0x3aee, v35
	v_add_f16_e32 v2, v43, v62
	v_add_f16_e32 v7, v46, v7
	v_fmac_f16_e32 v28, 0x3aee, v26
	v_fmac_f16_e32 v35, 0xbaee, v32
	v_fmamk_f16 v21, v39, 0xbaee, v14
	v_fmac_f16_e32 v14, 0x3aee, v39
	v_fmamk_f16 v24, v42, 0x3aee, v36
	;; [unrolled: 2-line block ×6, first 2 shown]
	v_fmac_f16_e32 v41, 0xbaee, v53
	ds_write_b32 v31, v1
	v_pack_b32_f16 v1, v12, v17
	v_pack_b32_f16 v0, v0, v5
	;; [unrolled: 1-line block ×14, first 2 shown]
	ds_write_b32 v31, v1 offset:260
	ds_write_b32 v31, v5 offset:520
	ds_write2_b32 v23, v0, v6 offset1:65
	ds_write_b32 v23, v7 offset:520
	ds_write2_b32 v31, v3, v2 offset0:26 offset1:39
	ds_write2_b32 v31, v12, v14 offset0:91 offset1:104
	;; [unrolled: 1-line block ×3, first 2 shown]
	ds_write_b32 v31, v4 offset:208
	ds_write_b32 v31, v16 offset:468
	;; [unrolled: 1-line block ×3, first 2 shown]
	s_waitcnt lgkmcnt(0)
	s_barrier
	buffer_gl0_inv
	s_and_saveexec_b32 s0, vcc_lo
	s_cbranch_execz .LBB0_17
; %bb.16:
	v_mul_lo_u32 v6, s5, v10
	v_mul_lo_u32 v7, s4, v11
	v_mad_u64_u32 v[2:3], null, s4, v10, 0
	v_mad_u64_u32 v[0:1], null, s2, v29, 0
	v_add_nc_u32_e32 v11, 13, v29
	v_add_nc_u32_e32 v15, 26, v29
	v_add_nc_u32_e32 v16, 39, v29
	v_lshl_add_u32 v19, v29, 2, v30
	v_add3_u32 v3, v3, v7, v6
	v_mad_u64_u32 v[4:5], null, s2, v11, 0
	v_mad_u64_u32 v[6:7], null, s3, v29, v[1:2]
	v_lshlrev_b64 v[2:3], 2, v[2:3]
	v_mad_u64_u32 v[13:14], null, s2, v16, 0
	v_lshlrev_b64 v[7:8], 2, v[8:9]
	ds_read2_b32 v[9:10], v19 offset1:13
	v_mov_b32_e32 v1, v6
	v_add_co_u32 v6, vcc_lo, s10, v2
	v_add_co_ci_u32_e32 v17, vcc_lo, s11, v3, vcc_lo
	v_lshlrev_b64 v[0:1], 2, v[0:1]
	v_mad_u64_u32 v[2:3], null, s3, v11, v[5:6]
	v_mad_u64_u32 v[11:12], null, s2, v15, 0
	v_mov_b32_e32 v3, v14
	v_add_co_u32 v20, vcc_lo, v6, v7
	v_add_co_ci_u32_e32 v21, vcc_lo, v17, v8, vcc_lo
	v_mov_b32_e32 v5, v2
	v_mov_b32_e32 v2, v12
	v_add_co_u32 v0, vcc_lo, v20, v0
	v_add_co_ci_u32_e32 v1, vcc_lo, v21, v1, vcc_lo
	v_mad_u64_u32 v[6:7], null, s3, v15, v[2:3]
	v_lshlrev_b64 v[4:5], 2, v[4:5]
	s_waitcnt lgkmcnt(0)
	global_store_dword v[0:1], v9, off
	v_add_nc_u32_e32 v15, 52, v29
	v_add_nc_u32_e32 v17, 0xb6, v29
	v_mad_u64_u32 v[2:3], null, s3, v16, v[3:4]
	v_mov_b32_e32 v12, v6
	v_add_co_u32 v0, vcc_lo, v20, v4
	v_add_nc_u32_e32 v16, 0x41, v29
	v_add_co_ci_u32_e32 v1, vcc_lo, v21, v5, vcc_lo
	v_lshlrev_b64 v[4:5], 2, v[11:12]
	v_mov_b32_e32 v14, v2
	v_mad_u64_u32 v[2:3], null, s2, v15, 0
	v_mad_u64_u32 v[8:9], null, s2, v16, 0
	global_store_dword v[0:1], v10, off
	ds_read2_b32 v[0:1], v19 offset0:26 offset1:39
	v_add_co_u32 v4, vcc_lo, v20, v4
	v_lshlrev_b64 v[6:7], 2, v[13:14]
	v_add_co_ci_u32_e32 v5, vcc_lo, v21, v5, vcc_lo
	v_mad_u64_u32 v[10:11], null, s3, v15, v[3:4]
	v_mov_b32_e32 v3, v9
	v_add_co_u32 v6, vcc_lo, v20, v6
	v_add_nc_u32_e32 v14, 0x5b, v29
	v_add_co_ci_u32_e32 v7, vcc_lo, v21, v7, vcc_lo
	v_mad_u64_u32 v[11:12], null, s3, v16, v[3:4]
	v_add_nc_u32_e32 v12, 0x4e, v29
	s_waitcnt lgkmcnt(0)
	global_store_dword v[4:5], v0, off
	global_store_dword v[6:7], v1, off
	v_mad_u64_u32 v[4:5], null, s2, v12, 0
	v_mov_b32_e32 v9, v11
	v_mad_u64_u32 v[6:7], null, s2, v14, 0
	v_mov_b32_e32 v3, v10
	ds_read2_b32 v[0:1], v19 offset0:52 offset1:65
	v_lshlrev_b64 v[8:9], 2, v[8:9]
	v_add_nc_u32_e32 v15, 0x68, v29
	v_lshlrev_b64 v[2:3], 2, v[2:3]
	v_mad_u64_u32 v[12:13], null, s3, v12, v[5:6]
	v_mad_u64_u32 v[13:14], null, s3, v14, v[7:8]
	v_mad_u64_u32 v[10:11], null, s2, v15, 0
	v_add_co_u32 v2, vcc_lo, v20, v2
	v_add_co_ci_u32_e32 v3, vcc_lo, v21, v3, vcc_lo
	v_add_co_u32 v8, vcc_lo, v20, v8
	v_add_co_ci_u32_e32 v9, vcc_lo, v21, v9, vcc_lo
	v_mov_b32_e32 v5, v12
	v_add_nc_u32_e32 v14, 0x75, v29
	v_mov_b32_e32 v7, v13
	v_mad_u64_u32 v[11:12], null, s3, v15, v[11:12]
	s_waitcnt lgkmcnt(0)
	global_store_dword v[2:3], v0, off
	global_store_dword v[8:9], v1, off
	v_mad_u64_u32 v[12:13], null, s2, v14, 0
	ds_read2_b32 v[0:1], v19 offset0:78 offset1:91
	v_lshlrev_b64 v[2:3], 2, v[4:5]
	v_lshlrev_b64 v[4:5], 2, v[6:7]
	ds_read2_b32 v[6:7], v19 offset0:104 offset1:117
	v_lshlrev_b64 v[9:10], 2, v[10:11]
	v_mov_b32_e32 v8, v13
	v_add_co_u32 v2, vcc_lo, v20, v2
	v_add_co_ci_u32_e32 v3, vcc_lo, v21, v3, vcc_lo
	v_add_co_u32 v4, vcc_lo, v20, v4
	v_add_co_ci_u32_e32 v5, vcc_lo, v21, v5, vcc_lo
	v_mad_u64_u32 v[13:14], null, s3, v14, v[8:9]
	v_add_co_u32 v8, vcc_lo, v20, v9
	v_add_co_ci_u32_e32 v9, vcc_lo, v21, v10, vcc_lo
	s_waitcnt lgkmcnt(1)
	global_store_dword v[2:3], v0, off
	global_store_dword v[4:5], v1, off
	v_add_nc_u32_e32 v10, 0x82, v29
	v_lshlrev_b64 v[0:1], 2, v[12:13]
	s_waitcnt lgkmcnt(0)
	global_store_dword v[8:9], v6, off
	v_add_nc_u32_e32 v6, 0x8f, v29
	v_add_nc_u32_e32 v12, 0x9c, v29
	v_mad_u64_u32 v[2:3], null, s2, v10, 0
	v_add_co_u32 v0, vcc_lo, v20, v0
	v_mad_u64_u32 v[4:5], null, s2, v6, 0
	v_mad_u64_u32 v[8:9], null, s2, v12, 0
	v_add_co_ci_u32_e32 v1, vcc_lo, v21, v1, vcc_lo
	v_add_nc_u32_e32 v14, 0xa9, v29
	v_mad_u64_u32 v[10:11], null, s3, v10, v[3:4]
	global_store_dword v[0:1], v7, off
	v_mad_u64_u32 v[0:1], null, s3, v6, v[5:6]
	v_mad_u64_u32 v[6:7], null, s2, v14, 0
	v_mov_b32_e32 v1, v9
	v_mov_b32_e32 v3, v10
	;; [unrolled: 1-line block ×3, first 2 shown]
	v_mad_u64_u32 v[9:10], null, s3, v12, v[1:2]
	v_lshlrev_b64 v[1:2], 2, v[2:3]
	v_mad_u64_u32 v[12:13], null, s2, v17, 0
	v_mov_b32_e32 v0, v7
	v_lshlrev_b64 v[3:4], 2, v[4:5]
	ds_read2_b32 v[10:11], v19 offset0:130 offset1:143
	v_lshlrev_b64 v[8:9], 2, v[8:9]
	v_mad_u64_u32 v[14:15], null, s3, v14, v[0:1]
	v_add_co_u32 v0, vcc_lo, v20, v1
	v_add_co_ci_u32_e32 v1, vcc_lo, v21, v2, vcc_lo
	v_mov_b32_e32 v2, v13
	ds_read2_b32 v[15:16], v19 offset0:156 offset1:169
	v_mov_b32_e32 v7, v14
	ds_read_b32 v14, v19 offset:728
	v_mad_u64_u32 v[17:18], null, s3, v17, v[2:3]
	v_add_co_u32 v2, vcc_lo, v20, v3
	v_add_co_ci_u32_e32 v3, vcc_lo, v21, v4, vcc_lo
	v_lshlrev_b64 v[4:5], 2, v[6:7]
	v_add_co_u32 v6, vcc_lo, v20, v8
	v_mov_b32_e32 v13, v17
	v_add_co_ci_u32_e32 v7, vcc_lo, v21, v9, vcc_lo
	v_add_co_u32 v4, vcc_lo, v20, v4
	v_lshlrev_b64 v[8:9], 2, v[12:13]
	v_add_co_ci_u32_e32 v5, vcc_lo, v21, v5, vcc_lo
	v_add_co_u32 v8, vcc_lo, v20, v8
	v_add_co_ci_u32_e32 v9, vcc_lo, v21, v9, vcc_lo
	s_waitcnt lgkmcnt(2)
	global_store_dword v[0:1], v10, off
	global_store_dword v[2:3], v11, off
	s_waitcnt lgkmcnt(1)
	global_store_dword v[6:7], v15, off
	global_store_dword v[4:5], v16, off
	s_waitcnt lgkmcnt(0)
	global_store_dword v[8:9], v14, off
.LBB0_17:
	s_endpgm
	.section	.rodata,"a",@progbits
	.p2align	6, 0x0
	.amdhsa_kernel fft_rtc_back_len195_factors_13_5_3_wgs_52_tpt_13_half_op_CI_CI_sbrr_dirReg
		.amdhsa_group_segment_fixed_size 0
		.amdhsa_private_segment_fixed_size 0
		.amdhsa_kernarg_size 104
		.amdhsa_user_sgpr_count 6
		.amdhsa_user_sgpr_private_segment_buffer 1
		.amdhsa_user_sgpr_dispatch_ptr 0
		.amdhsa_user_sgpr_queue_ptr 0
		.amdhsa_user_sgpr_kernarg_segment_ptr 1
		.amdhsa_user_sgpr_dispatch_id 0
		.amdhsa_user_sgpr_flat_scratch_init 0
		.amdhsa_user_sgpr_private_segment_size 0
		.amdhsa_wavefront_size32 1
		.amdhsa_uses_dynamic_stack 0
		.amdhsa_system_sgpr_private_segment_wavefront_offset 0
		.amdhsa_system_sgpr_workgroup_id_x 1
		.amdhsa_system_sgpr_workgroup_id_y 0
		.amdhsa_system_sgpr_workgroup_id_z 0
		.amdhsa_system_sgpr_workgroup_info 0
		.amdhsa_system_vgpr_workitem_id 0
		.amdhsa_next_free_vgpr 120
		.amdhsa_next_free_sgpr 31
		.amdhsa_reserve_vcc 1
		.amdhsa_reserve_flat_scratch 0
		.amdhsa_float_round_mode_32 0
		.amdhsa_float_round_mode_16_64 0
		.amdhsa_float_denorm_mode_32 3
		.amdhsa_float_denorm_mode_16_64 3
		.amdhsa_dx10_clamp 1
		.amdhsa_ieee_mode 1
		.amdhsa_fp16_overflow 0
		.amdhsa_workgroup_processor_mode 1
		.amdhsa_memory_ordered 1
		.amdhsa_forward_progress 0
		.amdhsa_shared_vgpr_count 0
		.amdhsa_exception_fp_ieee_invalid_op 0
		.amdhsa_exception_fp_denorm_src 0
		.amdhsa_exception_fp_ieee_div_zero 0
		.amdhsa_exception_fp_ieee_overflow 0
		.amdhsa_exception_fp_ieee_underflow 0
		.amdhsa_exception_fp_ieee_inexact 0
		.amdhsa_exception_int_div_zero 0
	.end_amdhsa_kernel
	.text
.Lfunc_end0:
	.size	fft_rtc_back_len195_factors_13_5_3_wgs_52_tpt_13_half_op_CI_CI_sbrr_dirReg, .Lfunc_end0-fft_rtc_back_len195_factors_13_5_3_wgs_52_tpt_13_half_op_CI_CI_sbrr_dirReg
                                        ; -- End function
	.section	.AMDGPU.csdata,"",@progbits
; Kernel info:
; codeLenInByte = 12512
; NumSgprs: 33
; NumVgprs: 120
; ScratchSize: 0
; MemoryBound: 0
; FloatMode: 240
; IeeeMode: 1
; LDSByteSize: 0 bytes/workgroup (compile time only)
; SGPRBlocks: 4
; VGPRBlocks: 14
; NumSGPRsForWavesPerEU: 33
; NumVGPRsForWavesPerEU: 120
; Occupancy: 8
; WaveLimiterHint : 1
; COMPUTE_PGM_RSRC2:SCRATCH_EN: 0
; COMPUTE_PGM_RSRC2:USER_SGPR: 6
; COMPUTE_PGM_RSRC2:TRAP_HANDLER: 0
; COMPUTE_PGM_RSRC2:TGID_X_EN: 1
; COMPUTE_PGM_RSRC2:TGID_Y_EN: 0
; COMPUTE_PGM_RSRC2:TGID_Z_EN: 0
; COMPUTE_PGM_RSRC2:TIDIG_COMP_CNT: 0
	.text
	.p2alignl 6, 3214868480
	.fill 48, 4, 3214868480
	.type	__hip_cuid_a156cabc8568c763,@object ; @__hip_cuid_a156cabc8568c763
	.section	.bss,"aw",@nobits
	.globl	__hip_cuid_a156cabc8568c763
__hip_cuid_a156cabc8568c763:
	.byte	0                               ; 0x0
	.size	__hip_cuid_a156cabc8568c763, 1

	.ident	"AMD clang version 19.0.0git (https://github.com/RadeonOpenCompute/llvm-project roc-6.4.0 25133 c7fe45cf4b819c5991fe208aaa96edf142730f1d)"
	.section	".note.GNU-stack","",@progbits
	.addrsig
	.addrsig_sym __hip_cuid_a156cabc8568c763
	.amdgpu_metadata
---
amdhsa.kernels:
  - .args:
      - .actual_access:  read_only
        .address_space:  global
        .offset:         0
        .size:           8
        .value_kind:     global_buffer
      - .offset:         8
        .size:           8
        .value_kind:     by_value
      - .actual_access:  read_only
        .address_space:  global
        .offset:         16
        .size:           8
        .value_kind:     global_buffer
      - .actual_access:  read_only
        .address_space:  global
        .offset:         24
        .size:           8
        .value_kind:     global_buffer
      - .actual_access:  read_only
        .address_space:  global
        .offset:         32
        .size:           8
        .value_kind:     global_buffer
      - .offset:         40
        .size:           8
        .value_kind:     by_value
      - .actual_access:  read_only
        .address_space:  global
        .offset:         48
        .size:           8
        .value_kind:     global_buffer
      - .actual_access:  read_only
        .address_space:  global
        .offset:         56
        .size:           8
        .value_kind:     global_buffer
      - .offset:         64
        .size:           4
        .value_kind:     by_value
      - .actual_access:  read_only
        .address_space:  global
        .offset:         72
        .size:           8
        .value_kind:     global_buffer
      - .actual_access:  read_only
        .address_space:  global
        .offset:         80
        .size:           8
        .value_kind:     global_buffer
      - .actual_access:  read_only
        .address_space:  global
        .offset:         88
        .size:           8
        .value_kind:     global_buffer
      - .actual_access:  write_only
        .address_space:  global
        .offset:         96
        .size:           8
        .value_kind:     global_buffer
    .group_segment_fixed_size: 0
    .kernarg_segment_align: 8
    .kernarg_segment_size: 104
    .language:       OpenCL C
    .language_version:
      - 2
      - 0
    .max_flat_workgroup_size: 52
    .name:           fft_rtc_back_len195_factors_13_5_3_wgs_52_tpt_13_half_op_CI_CI_sbrr_dirReg
    .private_segment_fixed_size: 0
    .sgpr_count:     33
    .sgpr_spill_count: 0
    .symbol:         fft_rtc_back_len195_factors_13_5_3_wgs_52_tpt_13_half_op_CI_CI_sbrr_dirReg.kd
    .uniform_work_group_size: 1
    .uses_dynamic_stack: false
    .vgpr_count:     120
    .vgpr_spill_count: 0
    .wavefront_size: 32
    .workgroup_processor_mode: 1
amdhsa.target:   amdgcn-amd-amdhsa--gfx1030
amdhsa.version:
  - 1
  - 2
...

	.end_amdgpu_metadata
